;; amdgpu-corpus repo=ROCm/rocFFT kind=compiled arch=gfx1201 opt=O3
	.text
	.amdgcn_target "amdgcn-amd-amdhsa--gfx1201"
	.amdhsa_code_object_version 6
	.protected	bluestein_single_fwd_len1734_dim1_dp_op_CI_CI ; -- Begin function bluestein_single_fwd_len1734_dim1_dp_op_CI_CI
	.globl	bluestein_single_fwd_len1734_dim1_dp_op_CI_CI
	.p2align	8
	.type	bluestein_single_fwd_len1734_dim1_dp_op_CI_CI,@function
bluestein_single_fwd_len1734_dim1_dp_op_CI_CI: ; @bluestein_single_fwd_len1734_dim1_dp_op_CI_CI
; %bb.0:
	s_load_b128 s[16:19], s[0:1], 0x28
	v_mul_u32_u24_e32 v1, 0x283, v0
	s_mov_b32 s2, exec_lo
	v_mov_b32_e32 v5, 0
	s_delay_alu instid0(VALU_DEP_2) | instskip(NEXT) | instid1(VALU_DEP_1)
	v_lshrrev_b32_e32 v1, 16, v1
	v_add_nc_u32_e32 v4, ttmp9, v1
	s_wait_kmcnt 0x0
	s_delay_alu instid0(VALU_DEP_1)
	v_cmpx_gt_u64_e64 s[16:17], v[4:5]
	s_cbranch_execz .LBB0_10
; %bb.1:
	s_clause 0x1
	s_load_b128 s[4:7], s[0:1], 0x18
	s_load_b128 s[8:11], s[0:1], 0x0
	v_mul_lo_u16 v1, 0x66, v1
	s_mov_b32 s34, 0x5d8e7cdc
	s_mov_b32 s40, 0x2a9d6da3
	;; [unrolled: 1-line block ×4, first 2 shown]
	v_sub_nc_u16 v200, v0, v1
	s_mov_b32 s26, 0x923c349f
	s_mov_b32 s28, 0x6c9a05f6
	;; [unrolled: 1-line block ×4, first 2 shown]
	v_and_b32_e32 v7, 0xffff, v200
	v_mov_b32_e32 v5, v4
	s_mov_b32 s35, 0xbfd71e95
	s_mov_b32 s41, 0xbfe58eea
	;; [unrolled: 1-line block ×3, first 2 shown]
	v_lshlrev_b32_e32 v246, 4, v7
	s_clause 0x1
	scratch_store_b64 off, v[5:6], off
	scratch_store_b32 off, v7, off offset:8
	s_wait_kmcnt 0x0
	s_load_b128 s[12:15], s[4:5], 0x0
	s_mov_b32 s39, 0xbfefdd0d
	s_mov_b32 s27, 0xbfeec746
	;; [unrolled: 1-line block ×19, first 2 shown]
	s_wait_kmcnt 0x0
	v_mad_co_u64_u32 v[0:1], null, s14, v4, 0
	v_mad_co_u64_u32 v[2:3], null, s12, v7, 0
	s_mul_u64 s[2:3], s[12:13], 0x660
	s_mov_b32 s47, 0x3fd71e95
	s_mov_b32 s46, s34
	;; [unrolled: 1-line block ×5, first 2 shown]
	s_delay_alu instid0(VALU_DEP_1)
	v_mad_co_u64_u32 v[4:5], null, s15, v4, v[1:2]
	s_mov_b32 s14, 0x6ed5f1bb
	s_mov_b32 s15, 0xbfe348c8
	;; [unrolled: 1-line block ×6, first 2 shown]
	s_delay_alu instid0(VALU_DEP_1) | instskip(SKIP_4) | instid1(VALU_DEP_1)
	v_mad_co_u64_u32 v[5:6], null, s13, v7, v[3:4]
	v_mov_b32_e32 v1, v4
	s_mov_b32 s12, 0x910ea3b9
	s_mov_b32 s13, 0xbfeb34fa
	;; [unrolled: 1-line block ×3, first 2 shown]
	v_lshlrev_b64_e32 v[0:1], 4, v[0:1]
	s_delay_alu instid0(VALU_DEP_3) | instskip(NEXT) | instid1(VALU_DEP_2)
	v_mov_b32_e32 v3, v5
	v_add_co_u32 v0, vcc_lo, s18, v0
	s_delay_alu instid0(VALU_DEP_2) | instskip(NEXT) | instid1(VALU_DEP_4)
	v_lshlrev_b64_e32 v[2:3], 4, v[2:3]
	v_add_co_ci_u32_e32 v1, vcc_lo, s19, v1, vcc_lo
	s_mov_b32 s18, 0x3259b75e
	s_mov_b32 s19, 0x3fb79ee6
	s_delay_alu instid0(VALU_DEP_2)
	v_add_co_u32 v4, vcc_lo, v0, v2
	s_wait_alu 0xfffd
	v_add_co_ci_u32_e32 v5, vcc_lo, v1, v3, vcc_lo
	global_load_b128 v[18:21], v246, s[8:9]
	global_load_b128 v[0:3], v[4:5], off
	v_add_co_u32 v8, vcc_lo, v4, s2
	s_wait_alu 0xfffd
	v_add_co_ci_u32_e32 v9, vcc_lo, s3, v5, vcc_lo
	global_load_b128 v[22:25], v246, s[8:9] offset:1632
	global_load_b128 v[4:7], v[8:9], off
	v_add_co_u32 v12, vcc_lo, v8, s2
	s_wait_alu 0xfffd
	v_add_co_ci_u32_e32 v13, vcc_lo, s3, v9, vcc_lo
	global_load_b128 v[26:29], v246, s[8:9] offset:3264
	global_load_b128 v[8:11], v[12:13], off
	s_wait_loadcnt 0x5
	scratch_store_b128 off, v[18:21], off offset:12 ; 16-byte Folded Spill
	s_wait_loadcnt 0x4
	v_mul_f64_e32 v[14:15], v[2:3], v[20:21]
	v_mul_f64_e32 v[16:17], v[0:1], v[20:21]
	s_wait_loadcnt 0x3
	scratch_store_b128 off, v[22:25], off offset:28 ; 16-byte Folded Spill
	s_wait_loadcnt 0x1
	scratch_store_b128 off, v[26:29], off offset:44 ; 16-byte Folded Spill
	v_fma_f64 v[68:69], v[0:1], v[18:19], v[14:15]
	v_fma_f64 v[70:71], v[2:3], v[18:19], -v[16:17]
	v_mul_f64_e32 v[0:1], v[6:7], v[24:25]
	v_mul_f64_e32 v[2:3], v[4:5], v[24:25]
	s_delay_alu instid0(VALU_DEP_2) | instskip(NEXT) | instid1(VALU_DEP_2)
	v_fma_f64 v[72:73], v[4:5], v[22:23], v[0:1]
	v_fma_f64 v[74:75], v[6:7], v[22:23], -v[2:3]
	s_wait_loadcnt 0x0
	v_mul_f64_e32 v[0:1], v[10:11], v[28:29]
	v_mul_f64_e32 v[2:3], v[8:9], v[28:29]
	v_add_co_u32 v4, vcc_lo, v12, s2
	s_wait_alu 0xfffd
	v_add_co_ci_u32_e32 v5, vcc_lo, s3, v13, vcc_lo
	s_delay_alu instid0(VALU_DEP_4) | instskip(NEXT) | instid1(VALU_DEP_4)
	v_fma_f64 v[76:77], v[8:9], v[26:27], v[0:1]
	v_fma_f64 v[78:79], v[10:11], v[26:27], -v[2:3]
	global_load_b128 v[10:13], v246, s[8:9] offset:4896
	global_load_b128 v[0:3], v[4:5], off
	v_add_co_u32 v4, vcc_lo, v4, s2
	s_wait_alu 0xfffd
	v_add_co_ci_u32_e32 v5, vcc_lo, s3, v5, vcc_lo
	s_wait_loadcnt 0x1
	scratch_store_b128 off, v[10:13], off offset:60 ; 16-byte Folded Spill
	s_wait_loadcnt 0x0
	v_mul_f64_e32 v[6:7], v[2:3], v[12:13]
	v_mul_f64_e32 v[8:9], v[0:1], v[12:13]
	s_delay_alu instid0(VALU_DEP_2) | instskip(NEXT) | instid1(VALU_DEP_2)
	v_fma_f64 v[80:81], v[0:1], v[10:11], v[6:7]
	v_fma_f64 v[82:83], v[2:3], v[10:11], -v[8:9]
	global_load_b128 v[10:13], v246, s[8:9] offset:6528
	global_load_b128 v[0:3], v[4:5], off
	v_add_co_u32 v4, vcc_lo, v4, s2
	s_wait_alu 0xfffd
	v_add_co_ci_u32_e32 v5, vcc_lo, s3, v5, vcc_lo
	s_wait_loadcnt 0x1
	scratch_store_b128 off, v[10:13], off offset:76 ; 16-byte Folded Spill
	s_wait_loadcnt 0x0
	v_mul_f64_e32 v[6:7], v[2:3], v[12:13]
	v_mul_f64_e32 v[8:9], v[0:1], v[12:13]
	s_delay_alu instid0(VALU_DEP_2) | instskip(NEXT) | instid1(VALU_DEP_2)
	;; [unrolled: 13-line block ×3, first 2 shown]
	v_fma_f64 v[88:89], v[0:1], v[10:11], v[6:7]
	v_fma_f64 v[90:91], v[2:3], v[10:11], -v[8:9]
	global_load_b128 v[10:13], v246, s[8:9] offset:9792
	global_load_b128 v[0:3], v[4:5], off
	s_wait_loadcnt 0x1
	scratch_store_b128 off, v[10:13], off offset:92 ; 16-byte Folded Spill
	s_wait_loadcnt 0x0
	v_mul_f64_e32 v[8:9], v[0:1], v[12:13]
	v_mul_f64_e32 v[6:7], v[2:3], v[12:13]
	s_delay_alu instid0(VALU_DEP_2) | instskip(SKIP_3) | instid1(VALU_DEP_4)
	v_fma_f64 v[2:3], v[2:3], v[10:11], -v[8:9]
	v_add_co_u32 v8, vcc_lo, v4, s2
	s_wait_alu 0xfffd
	v_add_co_ci_u32_e32 v9, vcc_lo, s3, v5, vcc_lo
	v_fma_f64 v[0:1], v[0:1], v[10:11], v[6:7]
	global_load_b128 v[14:17], v246, s[8:9] offset:11424
	global_load_b128 v[4:7], v[8:9], off
	s_wait_loadcnt 0x1
	scratch_store_b128 off, v[14:17], off offset:124 ; 16-byte Folded Spill
	s_wait_loadcnt 0x0
	v_mul_f64_e32 v[12:13], v[4:5], v[16:17]
	v_mul_f64_e32 v[10:11], v[6:7], v[16:17]
	s_delay_alu instid0(VALU_DEP_2) | instskip(SKIP_3) | instid1(VALU_DEP_4)
	v_fma_f64 v[6:7], v[6:7], v[14:15], -v[12:13]
	v_add_co_u32 v12, vcc_lo, v8, s2
	s_wait_alu 0xfffd
	v_add_co_ci_u32_e32 v13, vcc_lo, s3, v9, vcc_lo
	v_fma_f64 v[4:5], v[4:5], v[14:15], v[10:11]
	;; [unrolled: 13-line block ×9, first 2 shown]
	global_load_b128 v[46:49], v246, s[8:9] offset:24480
	global_load_b128 v[36:39], v[40:41], off
	v_add_co_u32 v40, vcc_lo, v40, s2
	s_wait_alu 0xfffd
	v_add_co_ci_u32_e32 v41, vcc_lo, s3, v41, vcc_lo
	s_mov_b32 s2, 0x7faef3
	s_mov_b32 s3, 0xbfef7484
	v_cmp_gt_u16_e64 vcc_lo, 0x55, v200
	s_wait_loadcnt 0x1
	scratch_store_b128 off, v[46:49], off offset:252 ; 16-byte Folded Spill
	s_wait_loadcnt 0x0
	v_mul_f64_e32 v[42:43], v[38:39], v[48:49]
	v_mul_f64_e32 v[44:45], v[36:37], v[48:49]
	s_delay_alu instid0(VALU_DEP_2)
	v_fma_f64 v[36:37], v[36:37], v[46:47], v[42:43]
	global_load_b128 v[40:43], v[40:41], off
	global_load_b128 v[48:51], v246, s[8:9] offset:26112
	v_fma_f64 v[38:39], v[38:39], v[46:47], -v[44:45]
	s_wait_loadcnt 0x0
	v_mul_f64_e32 v[44:45], v[42:43], v[50:51]
	v_mul_f64_e32 v[46:47], v[40:41], v[50:51]
	scratch_store_b128 off, v[48:51], off offset:268 ; 16-byte Folded Spill
	v_fma_f64 v[40:41], v[40:41], v[48:49], v[44:45]
	v_fma_f64 v[42:43], v[42:43], v[48:49], -v[46:47]
	ds_store_b128 v246, v[68:71]
	ds_store_b128 v246, v[72:75] offset:1632
	ds_store_b128 v246, v[76:79] offset:3264
	;; [unrolled: 1-line block ×16, first 2 shown]
	s_load_b128 s[4:7], s[6:7], 0x0
	global_wb scope:SCOPE_SE
	s_wait_storecnt_dscnt 0x0
	s_wait_kmcnt 0x0
	s_barrier_signal -1
	s_barrier_wait -1
	global_inv scope:SCOPE_SE
	ds_load_b128 v[68:71], v246
	ds_load_b128 v[72:75], v246 offset:1632
	ds_load_b128 v[76:79], v246 offset:3264
	;; [unrolled: 1-line block ×10, first 2 shown]
	s_wait_dscnt 0x9
	v_add_f64_e32 v[0:1], v[68:69], v[72:73]
	v_add_f64_e32 v[2:3], v[70:71], v[74:75]
	s_wait_dscnt 0x1
	v_add_f64_e64 v[28:29], v[100:101], -v[104:105]
	v_add_f64_e64 v[34:35], v[102:103], -v[106:107]
	s_wait_dscnt 0x0
	v_add_f64_e64 v[36:37], v[96:97], -v[8:9]
	v_add_f64_e64 v[38:39], v[98:99], -v[10:11]
	v_add_f64_e32 v[0:1], v[0:1], v[76:77]
	v_add_f64_e32 v[2:3], v[2:3], v[78:79]
	v_mul_f64_e32 v[180:181], s[46:47], v[28:29]
	v_mul_f64_e32 v[178:179], s[46:47], v[34:35]
	s_delay_alu instid0(VALU_DEP_4) | instskip(NEXT) | instid1(VALU_DEP_4)
	v_add_f64_e32 v[0:1], v[0:1], v[80:81]
	v_add_f64_e32 v[2:3], v[2:3], v[82:83]
	s_delay_alu instid0(VALU_DEP_2) | instskip(NEXT) | instid1(VALU_DEP_2)
	v_add_f64_e32 v[0:1], v[0:1], v[84:85]
	v_add_f64_e32 v[2:3], v[2:3], v[86:87]
	s_delay_alu instid0(VALU_DEP_2) | instskip(NEXT) | instid1(VALU_DEP_2)
	;; [unrolled: 3-line block ×5, first 2 shown]
	v_add_f64_e32 v[4:5], v[0:1], v[100:101]
	v_add_f64_e32 v[6:7], v[2:3], v[102:103]
	;; [unrolled: 1-line block ×4, first 2 shown]
	s_delay_alu instid0(VALU_DEP_4) | instskip(NEXT) | instid1(VALU_DEP_4)
	v_add_f64_e32 v[12:13], v[4:5], v[104:105]
	v_add_f64_e32 v[14:15], v[6:7], v[106:107]
	;; [unrolled: 1-line block ×4, first 2 shown]
	s_delay_alu instid0(VALU_DEP_4) | instskip(NEXT) | instid1(VALU_DEP_4)
	v_add_f64_e32 v[16:17], v[12:13], v[8:9]
	v_add_f64_e32 v[18:19], v[14:15], v[10:11]
	ds_load_b128 v[12:15], v246 offset:17952
	s_wait_dscnt 0x0
	v_add_f64_e32 v[8:9], v[92:93], v[12:13]
	v_add_f64_e32 v[10:11], v[94:95], v[14:15]
	v_add_f64_e64 v[54:55], v[92:93], -v[12:13]
	v_add_f64_e64 v[60:61], v[94:95], -v[14:15]
	v_add_f64_e32 v[20:21], v[16:17], v[12:13]
	v_add_f64_e32 v[22:23], v[18:19], v[14:15]
	ds_load_b128 v[16:19], v246 offset:19584
	s_wait_dscnt 0x0
	v_add_f64_e32 v[12:13], v[88:89], v[16:17]
	v_add_f64_e32 v[14:15], v[90:91], v[18:19]
	v_add_f64_e64 v[100:101], v[88:89], -v[16:17]
	v_add_f64_e64 v[102:103], v[90:91], -v[18:19]
	;; [unrolled: 8-line block ×5, first 2 shown]
	v_add_f64_e32 v[40:41], v[40:41], v[30:31]
	v_add_f64_e32 v[42:43], v[42:43], v[32:33]
	ds_load_b128 v[30:33], v246 offset:26112
	global_wb scope:SCOPE_SE
	s_wait_dscnt 0x0
	s_barrier_signal -1
	s_barrier_wait -1
	global_inv scope:SCOPE_SE
	v_add_f64_e64 v[44:45], v[74:75], -v[32:33]
	v_add_f64_e32 v[46:47], v[72:73], v[30:31]
	v_add_f64_e32 v[48:49], v[74:75], v[32:33]
	v_add_f64_e64 v[50:51], v[72:73], -v[30:31]
	v_add_f64_e32 v[72:73], v[40:41], v[30:31]
	v_add_f64_e32 v[74:75], v[42:43], v[32:33]
	v_mul_f64_e32 v[30:31], s[34:35], v[44:45]
	v_mul_f64_e32 v[32:33], s[40:41], v[44:45]
	;; [unrolled: 1-line block ×13, first 2 shown]
	v_fma_f64 v[62:63], v[46:47], s[24:25], -v[30:31]
	v_fma_f64 v[30:31], v[46:47], s[24:25], v[30:31]
	v_fma_f64 v[64:65], v[46:47], s[22:23], -v[32:33]
	v_fma_f64 v[66:67], v[46:47], s[22:23], v[32:33]
	;; [unrolled: 2-line block ×8, first 2 shown]
	v_mul_f64_e32 v[46:47], s[40:41], v[50:51]
	v_mul_f64_e32 v[32:33], s[34:35], v[50:51]
	;; [unrolled: 1-line block ×3, first 2 shown]
	v_fma_f64 v[94:95], v[48:49], s[20:21], v[76:77]
	v_fma_f64 v[120:121], v[48:49], s[20:21], -v[76:77]
	v_fma_f64 v[122:123], v[48:49], s[18:19], v[78:79]
	v_fma_f64 v[124:125], v[48:49], s[18:19], -v[78:79]
	;; [unrolled: 2-line block ×5, first 2 shown]
	v_add_f64_e32 v[30:31], v[68:69], v[30:31]
	v_add_f64_e32 v[78:79], v[68:69], v[64:65]
	;; [unrolled: 1-line block ×10, first 2 shown]
	v_fma_f64 v[90:91], v[48:49], s[22:23], v[46:47]
	v_fma_f64 v[88:89], v[48:49], s[24:25], v[32:33]
	v_fma_f64 v[32:33], v[48:49], s[24:25], -v[32:33]
	v_fma_f64 v[46:47], v[48:49], s[22:23], -v[46:47]
	v_fma_f64 v[154:155], v[48:49], s[2:3], v[50:51]
	v_fma_f64 v[48:49], v[48:49], s[2:3], -v[50:51]
	v_add_f64_e32 v[50:51], v[68:69], v[62:63]
	v_add_f64_e32 v[84:85], v[70:71], v[94:95]
	;; [unrolled: 1-line block ×13, first 2 shown]
	v_mul_f64_e32 v[150:151], s[36:37], v[28:29]
	v_add_f64_e32 v[76:77], v[70:71], v[90:91]
	v_add_f64_e32 v[90:91], v[68:69], v[40:41]
	v_mul_f64_e32 v[40:41], s[40:41], v[114:115]
	v_add_f64_e32 v[80:81], v[70:71], v[46:47]
	v_add_f64_e32 v[62:63], v[70:71], v[88:89]
	;; [unrolled: 1-line block ×7, first 2 shown]
	v_fma_f64 v[42:43], v[24:25], s[22:23], -v[40:41]
	s_delay_alu instid0(VALU_DEP_1) | instskip(SKIP_1) | instid1(VALU_DEP_1)
	v_add_f64_e32 v[46:47], v[42:43], v[50:51]
	v_mul_f64_e32 v[42:43], s[40:41], v[112:113]
	v_fma_f64 v[44:45], v[26:27], s[22:23], v[42:43]
	s_delay_alu instid0(VALU_DEP_1) | instskip(SKIP_1) | instid1(VALU_DEP_1)
	v_add_f64_e32 v[48:49], v[44:45], v[62:63]
	v_mul_f64_e32 v[44:45], s[42:43], v[110:111]
	v_fma_f64 v[50:51], v[20:21], s[20:21], -v[44:45]
	s_delay_alu instid0(VALU_DEP_1) | instskip(SKIP_1) | instid1(VALU_DEP_1)
	v_add_f64_e32 v[50:51], v[50:51], v[46:47]
	v_mul_f64_e32 v[46:47], s[42:43], v[108:109]
	v_fma_f64 v[52:53], v[22:23], s[20:21], v[46:47]
	s_delay_alu instid0(VALU_DEP_1) | instskip(SKIP_1) | instid1(VALU_DEP_1)
	v_add_f64_e32 v[52:53], v[52:53], v[48:49]
	v_mul_f64_e32 v[48:49], s[38:39], v[106:107]
	;; [unrolled: 8-line block ×6, first 2 shown]
	v_fma_f64 v[68:69], v[0:1], s[2:3], -v[148:149]
	s_delay_alu instid0(VALU_DEP_1) | instskip(SKIP_1) | instid1(VALU_DEP_1)
	v_add_f64_e32 v[68:69], v[68:69], v[70:71]
	v_fma_f64 v[70:71], v[2:3], s[2:3], v[150:151]
	v_add_f64_e32 v[70:71], v[70:71], v[152:153]
	v_mul_f64_e32 v[152:153], s[38:39], v[114:115]
	s_delay_alu instid0(VALU_DEP_1) | instskip(SKIP_1) | instid1(VALU_DEP_2)
	v_fma_f64 v[154:155], v[24:25], s[18:19], -v[152:153]
	v_fma_f64 v[152:153], v[24:25], s[18:19], v[152:153]
	v_add_f64_e32 v[78:79], v[154:155], v[78:79]
	v_mul_f64_e32 v[154:155], s[38:39], v[112:113]
	s_delay_alu instid0(VALU_DEP_3) | instskip(NEXT) | instid1(VALU_DEP_2)
	v_add_f64_e32 v[82:83], v[152:153], v[82:83]
	v_fma_f64 v[156:157], v[26:27], s[18:19], v[154:155]
	v_fma_f64 v[152:153], v[26:27], s[18:19], -v[154:155]
	v_fma_f64 v[154:155], v[2:3], s[24:25], -v[180:181]
	s_delay_alu instid0(VALU_DEP_3) | instskip(SKIP_1) | instid1(VALU_DEP_4)
	v_add_f64_e32 v[76:77], v[156:157], v[76:77]
	v_mul_f64_e32 v[156:157], s[28:29], v[110:111]
	v_add_f64_e32 v[80:81], v[152:153], v[80:81]
	s_delay_alu instid0(VALU_DEP_2) | instskip(SKIP_1) | instid1(VALU_DEP_2)
	v_fma_f64 v[158:159], v[20:21], s[14:15], -v[156:157]
	v_fma_f64 v[152:153], v[20:21], s[14:15], v[156:157]
	v_add_f64_e32 v[78:79], v[158:159], v[78:79]
	v_mul_f64_e32 v[158:159], s[28:29], v[108:109]
	s_delay_alu instid0(VALU_DEP_3) | instskip(NEXT) | instid1(VALU_DEP_2)
	v_add_f64_e32 v[82:83], v[152:153], v[82:83]
	v_fma_f64 v[160:161], v[22:23], s[14:15], v[158:159]
	v_fma_f64 v[152:153], v[22:23], s[14:15], -v[158:159]
	s_delay_alu instid0(VALU_DEP_2) | instskip(SKIP_1) | instid1(VALU_DEP_3)
	v_add_f64_e32 v[76:77], v[160:161], v[76:77]
	v_mul_f64_e32 v[160:161], s[36:37], v[106:107]
	v_add_f64_e32 v[80:81], v[152:153], v[80:81]
	s_delay_alu instid0(VALU_DEP_2) | instskip(SKIP_1) | instid1(VALU_DEP_2)
	v_fma_f64 v[162:163], v[16:17], s[2:3], -v[160:161]
	v_fma_f64 v[152:153], v[16:17], s[2:3], v[160:161]
	v_add_f64_e32 v[78:79], v[162:163], v[78:79]
	v_mul_f64_e32 v[162:163], s[36:37], v[104:105]
	s_delay_alu instid0(VALU_DEP_3) | instskip(NEXT) | instid1(VALU_DEP_2)
	v_add_f64_e32 v[82:83], v[152:153], v[82:83]
	v_fma_f64 v[164:165], v[18:19], s[2:3], v[162:163]
	v_fma_f64 v[152:153], v[18:19], s[2:3], -v[162:163]
	s_delay_alu instid0(VALU_DEP_2) | instskip(SKIP_1) | instid1(VALU_DEP_3)
	;; [unrolled: 13-line block ×4, first 2 shown]
	v_add_f64_e32 v[76:77], v[172:173], v[76:77]
	v_mul_f64_e32 v[172:173], s[44:45], v[38:39]
	v_add_f64_e32 v[80:81], v[152:153], v[80:81]
	s_delay_alu instid0(VALU_DEP_2) | instskip(SKIP_1) | instid1(VALU_DEP_2)
	v_fma_f64 v[174:175], v[4:5], s[20:21], -v[172:173]
	v_fma_f64 v[152:153], v[4:5], s[20:21], v[172:173]
	v_add_f64_e32 v[78:79], v[174:175], v[78:79]
	v_mul_f64_e32 v[174:175], s[44:45], v[36:37]
	s_delay_alu instid0(VALU_DEP_3) | instskip(NEXT) | instid1(VALU_DEP_2)
	v_add_f64_e32 v[82:83], v[152:153], v[82:83]
	v_fma_f64 v[152:153], v[6:7], s[20:21], -v[174:175]
	v_fma_f64 v[176:177], v[6:7], s[20:21], v[174:175]
	s_delay_alu instid0(VALU_DEP_2) | instskip(SKIP_1) | instid1(VALU_DEP_3)
	v_add_f64_e32 v[152:153], v[152:153], v[80:81]
	v_fma_f64 v[80:81], v[0:1], s[24:25], v[178:179]
	v_add_f64_e32 v[176:177], v[176:177], v[76:77]
	v_fma_f64 v[76:77], v[0:1], s[24:25], -v[178:179]
	v_mul_f64_e32 v[178:179], s[30:31], v[34:35]
	s_delay_alu instid0(VALU_DEP_4)
	v_add_f64_e32 v[80:81], v[80:81], v[82:83]
	v_add_f64_e32 v[82:83], v[154:155], v[152:153]
	v_mul_f64_e32 v[152:153], s[28:29], v[114:115]
	v_add_f64_e32 v[76:77], v[76:77], v[78:79]
	v_fma_f64 v[78:79], v[2:3], s[24:25], v[180:181]
	v_mul_f64_e32 v[180:181], s[30:31], v[28:29]
	s_delay_alu instid0(VALU_DEP_4) | instskip(SKIP_1) | instid1(VALU_DEP_4)
	v_fma_f64 v[154:155], v[24:25], s[14:15], -v[152:153]
	v_fma_f64 v[152:153], v[24:25], s[14:15], v[152:153]
	v_add_f64_e32 v[78:79], v[78:79], v[176:177]
	s_delay_alu instid0(VALU_DEP_3) | instskip(SKIP_1) | instid1(VALU_DEP_4)
	v_add_f64_e32 v[86:87], v[154:155], v[86:87]
	v_mul_f64_e32 v[154:155], s[28:29], v[112:113]
	v_add_f64_e32 v[90:91], v[152:153], v[90:91]
	s_delay_alu instid0(VALU_DEP_2) | instskip(SKIP_2) | instid1(VALU_DEP_3)
	v_fma_f64 v[156:157], v[26:27], s[14:15], v[154:155]
	v_fma_f64 v[152:153], v[26:27], s[14:15], -v[154:155]
	v_fma_f64 v[154:155], v[2:3], s[12:13], -v[180:181]
	v_add_f64_e32 v[84:85], v[156:157], v[84:85]
	v_mul_f64_e32 v[156:157], s[58:59], v[110:111]
	s_delay_alu instid0(VALU_DEP_4) | instskip(NEXT) | instid1(VALU_DEP_2)
	v_add_f64_e32 v[88:89], v[152:153], v[88:89]
	v_fma_f64 v[158:159], v[20:21], s[2:3], -v[156:157]
	v_fma_f64 v[152:153], v[20:21], s[2:3], v[156:157]
	s_delay_alu instid0(VALU_DEP_2) | instskip(SKIP_1) | instid1(VALU_DEP_3)
	v_add_f64_e32 v[86:87], v[158:159], v[86:87]
	v_mul_f64_e32 v[158:159], s[58:59], v[108:109]
	v_add_f64_e32 v[90:91], v[152:153], v[90:91]
	s_delay_alu instid0(VALU_DEP_2) | instskip(SKIP_1) | instid1(VALU_DEP_2)
	v_fma_f64 v[160:161], v[22:23], s[2:3], v[158:159]
	v_fma_f64 v[152:153], v[22:23], s[2:3], -v[158:159]
	v_add_f64_e32 v[84:85], v[160:161], v[84:85]
	v_mul_f64_e32 v[160:161], s[52:53], v[106:107]
	s_delay_alu instid0(VALU_DEP_3) | instskip(NEXT) | instid1(VALU_DEP_2)
	v_add_f64_e32 v[88:89], v[152:153], v[88:89]
	v_fma_f64 v[162:163], v[16:17], s[16:17], -v[160:161]
	v_fma_f64 v[152:153], v[16:17], s[16:17], v[160:161]
	s_delay_alu instid0(VALU_DEP_2) | instskip(SKIP_1) | instid1(VALU_DEP_3)
	v_add_f64_e32 v[86:87], v[162:163], v[86:87]
	v_mul_f64_e32 v[162:163], s[52:53], v[104:105]
	v_add_f64_e32 v[90:91], v[152:153], v[90:91]
	s_delay_alu instid0(VALU_DEP_2) | instskip(SKIP_1) | instid1(VALU_DEP_2)
	v_fma_f64 v[164:165], v[18:19], s[16:17], v[162:163]
	v_fma_f64 v[152:153], v[18:19], s[16:17], -v[162:163]
	v_add_f64_e32 v[84:85], v[164:165], v[84:85]
	v_mul_f64_e32 v[164:165], s[48:49], v[102:103]
	s_delay_alu instid0(VALU_DEP_3) | instskip(NEXT) | instid1(VALU_DEP_2)
	;; [unrolled: 13-line block ×4, first 2 shown]
	v_add_f64_e32 v[88:89], v[152:153], v[88:89]
	v_fma_f64 v[174:175], v[4:5], s[18:19], -v[172:173]
	v_fma_f64 v[152:153], v[4:5], s[18:19], v[172:173]
	s_delay_alu instid0(VALU_DEP_2) | instskip(SKIP_1) | instid1(VALU_DEP_3)
	v_add_f64_e32 v[86:87], v[174:175], v[86:87]
	v_mul_f64_e32 v[174:175], s[38:39], v[36:37]
	v_add_f64_e32 v[90:91], v[152:153], v[90:91]
	s_delay_alu instid0(VALU_DEP_2) | instskip(SKIP_1) | instid1(VALU_DEP_2)
	v_fma_f64 v[152:153], v[6:7], s[18:19], -v[174:175]
	v_fma_f64 v[176:177], v[6:7], s[18:19], v[174:175]
	v_add_f64_e32 v[152:153], v[152:153], v[88:89]
	v_fma_f64 v[88:89], v[0:1], s[12:13], v[178:179]
	s_delay_alu instid0(VALU_DEP_3) | instskip(SKIP_2) | instid1(VALU_DEP_4)
	v_add_f64_e32 v[176:177], v[176:177], v[84:85]
	v_fma_f64 v[84:85], v[0:1], s[12:13], -v[178:179]
	v_mul_f64_e32 v[178:179], s[48:49], v[34:35]
	v_add_f64_e32 v[88:89], v[88:89], v[90:91]
	v_add_f64_e32 v[90:91], v[154:155], v[152:153]
	v_mul_f64_e32 v[152:153], s[36:37], v[114:115]
	v_add_f64_e32 v[84:85], v[84:85], v[86:87]
	v_fma_f64 v[86:87], v[2:3], s[12:13], v[180:181]
	v_mul_f64_e32 v[180:181], s[48:49], v[28:29]
	s_delay_alu instid0(VALU_DEP_4) | instskip(SKIP_1) | instid1(VALU_DEP_4)
	v_fma_f64 v[154:155], v[24:25], s[2:3], -v[152:153]
	v_fma_f64 v[152:153], v[24:25], s[2:3], v[152:153]
	v_add_f64_e32 v[86:87], v[86:87], v[176:177]
	s_delay_alu instid0(VALU_DEP_3) | instskip(SKIP_1) | instid1(VALU_DEP_4)
	v_add_f64_e32 v[94:95], v[154:155], v[94:95]
	v_mul_f64_e32 v[154:155], s[36:37], v[112:113]
	v_add_f64_e32 v[146:147], v[152:153], v[146:147]
	s_delay_alu instid0(VALU_DEP_2) | instskip(SKIP_2) | instid1(VALU_DEP_3)
	v_fma_f64 v[156:157], v[26:27], s[2:3], v[154:155]
	v_fma_f64 v[152:153], v[26:27], s[2:3], -v[154:155]
	v_fma_f64 v[154:155], v[2:3], s[22:23], -v[180:181]
	v_add_f64_e32 v[92:93], v[156:157], v[92:93]
	v_mul_f64_e32 v[156:157], s[52:53], v[110:111]
	s_delay_alu instid0(VALU_DEP_4) | instskip(NEXT) | instid1(VALU_DEP_2)
	v_add_f64_e32 v[144:145], v[152:153], v[144:145]
	v_fma_f64 v[158:159], v[20:21], s[16:17], -v[156:157]
	v_fma_f64 v[152:153], v[20:21], s[16:17], v[156:157]
	s_delay_alu instid0(VALU_DEP_2) | instskip(SKIP_1) | instid1(VALU_DEP_3)
	v_add_f64_e32 v[94:95], v[158:159], v[94:95]
	v_mul_f64_e32 v[158:159], s[52:53], v[108:109]
	v_add_f64_e32 v[146:147], v[152:153], v[146:147]
	s_delay_alu instid0(VALU_DEP_2) | instskip(SKIP_1) | instid1(VALU_DEP_2)
	v_fma_f64 v[160:161], v[22:23], s[16:17], v[158:159]
	v_fma_f64 v[152:153], v[22:23], s[16:17], -v[158:159]
	v_add_f64_e32 v[92:93], v[160:161], v[92:93]
	v_mul_f64_e32 v[160:161], s[46:47], v[106:107]
	s_delay_alu instid0(VALU_DEP_3) | instskip(NEXT) | instid1(VALU_DEP_2)
	v_add_f64_e32 v[144:145], v[152:153], v[144:145]
	v_fma_f64 v[162:163], v[16:17], s[24:25], -v[160:161]
	v_fma_f64 v[152:153], v[16:17], s[24:25], v[160:161]
	s_delay_alu instid0(VALU_DEP_2) | instskip(SKIP_1) | instid1(VALU_DEP_3)
	v_add_f64_e32 v[94:95], v[162:163], v[94:95]
	v_mul_f64_e32 v[162:163], s[46:47], v[104:105]
	v_add_f64_e32 v[146:147], v[152:153], v[146:147]
	s_delay_alu instid0(VALU_DEP_2) | instskip(SKIP_1) | instid1(VALU_DEP_2)
	v_fma_f64 v[164:165], v[18:19], s[24:25], v[162:163]
	v_fma_f64 v[152:153], v[18:19], s[24:25], -v[162:163]
	v_add_f64_e32 v[92:93], v[164:165], v[92:93]
	v_mul_f64_e32 v[164:165], s[42:43], v[102:103]
	s_delay_alu instid0(VALU_DEP_3) | instskip(NEXT) | instid1(VALU_DEP_2)
	;; [unrolled: 13-line block ×4, first 2 shown]
	v_add_f64_e32 v[144:145], v[152:153], v[144:145]
	v_fma_f64 v[174:175], v[4:5], s[14:15], -v[172:173]
	v_fma_f64 v[152:153], v[4:5], s[14:15], v[172:173]
	s_delay_alu instid0(VALU_DEP_2) | instskip(SKIP_1) | instid1(VALU_DEP_3)
	v_add_f64_e32 v[94:95], v[174:175], v[94:95]
	v_mul_f64_e32 v[174:175], s[54:55], v[36:37]
	v_add_f64_e32 v[146:147], v[152:153], v[146:147]
	s_delay_alu instid0(VALU_DEP_2) | instskip(SKIP_1) | instid1(VALU_DEP_2)
	v_fma_f64 v[152:153], v[6:7], s[14:15], -v[174:175]
	v_fma_f64 v[176:177], v[6:7], s[14:15], v[174:175]
	v_add_f64_e32 v[152:153], v[152:153], v[144:145]
	v_fma_f64 v[144:145], v[0:1], s[22:23], v[178:179]
	s_delay_alu instid0(VALU_DEP_3) | instskip(SKIP_2) | instid1(VALU_DEP_4)
	v_add_f64_e32 v[176:177], v[176:177], v[92:93]
	v_fma_f64 v[92:93], v[0:1], s[22:23], -v[178:179]
	v_mul_f64_e32 v[178:179], s[28:29], v[34:35]
	v_add_f64_e32 v[144:145], v[144:145], v[146:147]
	v_add_f64_e32 v[146:147], v[154:155], v[152:153]
	v_mul_f64_e32 v[152:153], s[56:57], v[114:115]
	v_add_f64_e32 v[92:93], v[92:93], v[94:95]
	v_fma_f64 v[94:95], v[2:3], s[22:23], v[180:181]
	v_mul_f64_e32 v[180:181], s[28:29], v[28:29]
	s_delay_alu instid0(VALU_DEP_4) | instskip(SKIP_1) | instid1(VALU_DEP_4)
	v_fma_f64 v[154:155], v[24:25], s[12:13], -v[152:153]
	v_fma_f64 v[152:153], v[24:25], s[12:13], v[152:153]
	v_add_f64_e32 v[94:95], v[94:95], v[176:177]
	s_delay_alu instid0(VALU_DEP_3) | instskip(SKIP_1) | instid1(VALU_DEP_4)
	v_add_f64_e32 v[142:143], v[154:155], v[142:143]
	v_mul_f64_e32 v[154:155], s[56:57], v[112:113]
	v_add_f64_e32 v[138:139], v[152:153], v[138:139]
	s_delay_alu instid0(VALU_DEP_2) | instskip(SKIP_2) | instid1(VALU_DEP_3)
	v_fma_f64 v[156:157], v[26:27], s[12:13], v[154:155]
	v_fma_f64 v[152:153], v[26:27], s[12:13], -v[154:155]
	v_fma_f64 v[154:155], v[2:3], s[14:15], -v[180:181]
	v_add_f64_e32 v[140:141], v[156:157], v[140:141]
	v_mul_f64_e32 v[156:157], s[48:49], v[110:111]
	s_delay_alu instid0(VALU_DEP_4) | instskip(NEXT) | instid1(VALU_DEP_2)
	v_add_f64_e32 v[136:137], v[152:153], v[136:137]
	v_fma_f64 v[158:159], v[20:21], s[22:23], -v[156:157]
	v_fma_f64 v[152:153], v[20:21], s[22:23], v[156:157]
	s_delay_alu instid0(VALU_DEP_2) | instskip(SKIP_1) | instid1(VALU_DEP_3)
	v_add_f64_e32 v[142:143], v[158:159], v[142:143]
	v_mul_f64_e32 v[158:159], s[48:49], v[108:109]
	v_add_f64_e32 v[138:139], v[152:153], v[138:139]
	s_delay_alu instid0(VALU_DEP_2) | instskip(SKIP_1) | instid1(VALU_DEP_2)
	v_fma_f64 v[160:161], v[22:23], s[22:23], v[158:159]
	v_fma_f64 v[152:153], v[22:23], s[22:23], -v[158:159]
	v_add_f64_e32 v[140:141], v[160:161], v[140:141]
	v_mul_f64_e32 v[160:161], s[42:43], v[106:107]
	s_delay_alu instid0(VALU_DEP_3) | instskip(NEXT) | instid1(VALU_DEP_2)
	v_add_f64_e32 v[136:137], v[152:153], v[136:137]
	v_fma_f64 v[162:163], v[16:17], s[20:21], -v[160:161]
	v_fma_f64 v[152:153], v[16:17], s[20:21], v[160:161]
	s_delay_alu instid0(VALU_DEP_2) | instskip(SKIP_1) | instid1(VALU_DEP_3)
	v_add_f64_e32 v[142:143], v[162:163], v[142:143]
	v_mul_f64_e32 v[162:163], s[42:43], v[104:105]
	v_add_f64_e32 v[138:139], v[152:153], v[138:139]
	s_delay_alu instid0(VALU_DEP_2) | instskip(SKIP_1) | instid1(VALU_DEP_2)
	v_fma_f64 v[164:165], v[18:19], s[20:21], v[162:163]
	v_fma_f64 v[152:153], v[18:19], s[20:21], -v[162:163]
	v_add_f64_e32 v[140:141], v[164:165], v[140:141]
	v_mul_f64_e32 v[164:165], s[36:37], v[102:103]
	s_delay_alu instid0(VALU_DEP_3) | instskip(NEXT) | instid1(VALU_DEP_2)
	;; [unrolled: 13-line block ×4, first 2 shown]
	v_add_f64_e32 v[136:137], v[152:153], v[136:137]
	v_fma_f64 v[174:175], v[4:5], s[24:25], -v[172:173]
	v_fma_f64 v[152:153], v[4:5], s[24:25], v[172:173]
	s_delay_alu instid0(VALU_DEP_2) | instskip(SKIP_1) | instid1(VALU_DEP_3)
	v_add_f64_e32 v[142:143], v[174:175], v[142:143]
	v_mul_f64_e32 v[174:175], s[34:35], v[36:37]
	v_add_f64_e32 v[138:139], v[152:153], v[138:139]
	s_delay_alu instid0(VALU_DEP_2) | instskip(SKIP_1) | instid1(VALU_DEP_2)
	v_fma_f64 v[152:153], v[6:7], s[24:25], -v[174:175]
	v_fma_f64 v[176:177], v[6:7], s[24:25], v[174:175]
	v_add_f64_e32 v[152:153], v[152:153], v[136:137]
	v_fma_f64 v[136:137], v[0:1], s[14:15], v[178:179]
	s_delay_alu instid0(VALU_DEP_3) | instskip(SKIP_2) | instid1(VALU_DEP_4)
	v_add_f64_e32 v[176:177], v[176:177], v[140:141]
	v_fma_f64 v[140:141], v[0:1], s[14:15], -v[178:179]
	v_mul_f64_e32 v[178:179], s[44:45], v[34:35]
	v_add_f64_e32 v[136:137], v[136:137], v[138:139]
	v_add_f64_e32 v[138:139], v[154:155], v[152:153]
	v_mul_f64_e32 v[152:153], s[52:53], v[114:115]
	v_add_f64_e32 v[140:141], v[140:141], v[142:143]
	v_fma_f64 v[142:143], v[2:3], s[14:15], v[180:181]
	v_mul_f64_e32 v[180:181], s[44:45], v[28:29]
	s_delay_alu instid0(VALU_DEP_4) | instskip(SKIP_1) | instid1(VALU_DEP_4)
	v_fma_f64 v[154:155], v[24:25], s[16:17], -v[152:153]
	v_fma_f64 v[152:153], v[24:25], s[16:17], v[152:153]
	v_add_f64_e32 v[142:143], v[142:143], v[176:177]
	s_delay_alu instid0(VALU_DEP_3) | instskip(SKIP_1) | instid1(VALU_DEP_4)
	v_add_f64_e32 v[134:135], v[154:155], v[134:135]
	v_mul_f64_e32 v[154:155], s[52:53], v[112:113]
	v_add_f64_e32 v[130:131], v[152:153], v[130:131]
	s_delay_alu instid0(VALU_DEP_2) | instskip(SKIP_2) | instid1(VALU_DEP_3)
	v_fma_f64 v[156:157], v[26:27], s[16:17], v[154:155]
	v_fma_f64 v[152:153], v[26:27], s[16:17], -v[154:155]
	v_fma_f64 v[154:155], v[2:3], s[20:21], -v[180:181]
	v_add_f64_e32 v[132:133], v[156:157], v[132:133]
	v_mul_f64_e32 v[156:157], s[34:35], v[110:111]
	s_delay_alu instid0(VALU_DEP_4) | instskip(NEXT) | instid1(VALU_DEP_2)
	v_add_f64_e32 v[128:129], v[152:153], v[128:129]
	v_fma_f64 v[158:159], v[20:21], s[24:25], -v[156:157]
	v_fma_f64 v[152:153], v[20:21], s[24:25], v[156:157]
	s_delay_alu instid0(VALU_DEP_2) | instskip(SKIP_1) | instid1(VALU_DEP_3)
	v_add_f64_e32 v[134:135], v[158:159], v[134:135]
	v_mul_f64_e32 v[158:159], s[34:35], v[108:109]
	v_add_f64_e32 v[130:131], v[152:153], v[130:131]
	s_delay_alu instid0(VALU_DEP_2) | instskip(SKIP_1) | instid1(VALU_DEP_2)
	v_fma_f64 v[160:161], v[22:23], s[24:25], v[158:159]
	v_fma_f64 v[152:153], v[22:23], s[24:25], -v[158:159]
	v_add_f64_e32 v[132:133], v[160:161], v[132:133]
	v_mul_f64_e32 v[160:161], s[30:31], v[106:107]
	s_delay_alu instid0(VALU_DEP_3) | instskip(NEXT) | instid1(VALU_DEP_2)
	v_add_f64_e32 v[128:129], v[152:153], v[128:129]
	v_fma_f64 v[162:163], v[16:17], s[12:13], -v[160:161]
	v_fma_f64 v[152:153], v[16:17], s[12:13], v[160:161]
	s_delay_alu instid0(VALU_DEP_2) | instskip(SKIP_1) | instid1(VALU_DEP_3)
	v_add_f64_e32 v[134:135], v[162:163], v[134:135]
	v_mul_f64_e32 v[162:163], s[30:31], v[104:105]
	v_add_f64_e32 v[130:131], v[152:153], v[130:131]
	s_delay_alu instid0(VALU_DEP_2) | instskip(SKIP_1) | instid1(VALU_DEP_2)
	v_fma_f64 v[164:165], v[18:19], s[12:13], v[162:163]
	v_fma_f64 v[152:153], v[18:19], s[12:13], -v[162:163]
	v_add_f64_e32 v[132:133], v[164:165], v[132:133]
	v_mul_f64_e32 v[164:165], s[50:51], v[102:103]
	s_delay_alu instid0(VALU_DEP_3) | instskip(NEXT) | instid1(VALU_DEP_2)
	;; [unrolled: 13-line block ×4, first 2 shown]
	v_add_f64_e32 v[128:129], v[152:153], v[128:129]
	v_fma_f64 v[174:175], v[4:5], s[2:3], -v[172:173]
	v_fma_f64 v[152:153], v[4:5], s[2:3], v[172:173]
	s_delay_alu instid0(VALU_DEP_2) | instskip(SKIP_1) | instid1(VALU_DEP_3)
	v_add_f64_e32 v[134:135], v[174:175], v[134:135]
	v_mul_f64_e32 v[174:175], s[36:37], v[36:37]
	v_add_f64_e32 v[130:131], v[152:153], v[130:131]
	s_delay_alu instid0(VALU_DEP_2) | instskip(SKIP_1) | instid1(VALU_DEP_2)
	v_fma_f64 v[152:153], v[6:7], s[2:3], -v[174:175]
	v_fma_f64 v[176:177], v[6:7], s[2:3], v[174:175]
	v_add_f64_e32 v[152:153], v[152:153], v[128:129]
	v_fma_f64 v[128:129], v[0:1], s[20:21], v[178:179]
	s_delay_alu instid0(VALU_DEP_3) | instskip(SKIP_2) | instid1(VALU_DEP_4)
	v_add_f64_e32 v[176:177], v[176:177], v[132:133]
	v_fma_f64 v[132:133], v[0:1], s[20:21], -v[178:179]
	v_mul_f64_e32 v[178:179], s[26:27], v[34:35]
	v_add_f64_e32 v[128:129], v[128:129], v[130:131]
	v_add_f64_e32 v[130:131], v[154:155], v[152:153]
	v_mul_f64_e32 v[152:153], s[44:45], v[114:115]
	v_add_f64_e32 v[132:133], v[132:133], v[134:135]
	v_fma_f64 v[134:135], v[2:3], s[20:21], v[180:181]
	v_mul_f64_e32 v[180:181], s[26:27], v[28:29]
	v_mul_f64_e32 v[114:115], s[46:47], v[114:115]
	;; [unrolled: 1-line block ×3, first 2 shown]
	v_fma_f64 v[154:155], v[24:25], s[20:21], -v[152:153]
	v_fma_f64 v[152:153], v[24:25], s[20:21], v[152:153]
	v_add_f64_e32 v[134:135], v[134:135], v[176:177]
	s_delay_alu instid0(VALU_DEP_3) | instskip(SKIP_1) | instid1(VALU_DEP_4)
	v_add_f64_e32 v[126:127], v[154:155], v[126:127]
	v_mul_f64_e32 v[154:155], s[44:45], v[112:113]
	v_add_f64_e32 v[122:123], v[152:153], v[122:123]
	v_mul_f64_e32 v[112:113], s[46:47], v[112:113]
	s_delay_alu instid0(VALU_DEP_3) | instskip(SKIP_2) | instid1(VALU_DEP_3)
	v_fma_f64 v[156:157], v[26:27], s[20:21], v[154:155]
	v_fma_f64 v[152:153], v[26:27], s[20:21], -v[154:155]
	v_fma_f64 v[154:155], v[2:3], s[16:17], -v[180:181]
	v_add_f64_e32 v[124:125], v[156:157], v[124:125]
	v_mul_f64_e32 v[156:157], s[38:39], v[110:111]
	s_delay_alu instid0(VALU_DEP_4) | instskip(SKIP_1) | instid1(VALU_DEP_3)
	v_add_f64_e32 v[120:121], v[152:153], v[120:121]
	v_mul_f64_e32 v[110:111], s[30:31], v[110:111]
	v_fma_f64 v[158:159], v[20:21], s[18:19], -v[156:157]
	v_fma_f64 v[152:153], v[20:21], s[18:19], v[156:157]
	s_delay_alu instid0(VALU_DEP_2) | instskip(SKIP_1) | instid1(VALU_DEP_3)
	v_add_f64_e32 v[126:127], v[158:159], v[126:127]
	v_mul_f64_e32 v[158:159], s[38:39], v[108:109]
	v_add_f64_e32 v[122:123], v[152:153], v[122:123]
	v_mul_f64_e32 v[108:109], s[30:31], v[108:109]
	s_delay_alu instid0(VALU_DEP_3) | instskip(SKIP_1) | instid1(VALU_DEP_2)
	v_fma_f64 v[160:161], v[22:23], s[18:19], v[158:159]
	v_fma_f64 v[152:153], v[22:23], s[18:19], -v[158:159]
	v_add_f64_e32 v[124:125], v[160:161], v[124:125]
	v_mul_f64_e32 v[160:161], s[54:55], v[106:107]
	s_delay_alu instid0(VALU_DEP_3) | instskip(SKIP_1) | instid1(VALU_DEP_3)
	v_add_f64_e32 v[120:121], v[152:153], v[120:121]
	v_mul_f64_e32 v[106:107], s[48:49], v[106:107]
	v_fma_f64 v[162:163], v[16:17], s[14:15], -v[160:161]
	v_fma_f64 v[152:153], v[16:17], s[14:15], v[160:161]
	s_delay_alu instid0(VALU_DEP_2) | instskip(SKIP_1) | instid1(VALU_DEP_3)
	v_add_f64_e32 v[126:127], v[162:163], v[126:127]
	v_mul_f64_e32 v[162:163], s[54:55], v[104:105]
	v_add_f64_e32 v[122:123], v[152:153], v[122:123]
	v_mul_f64_e32 v[104:105], s[48:49], v[104:105]
	s_delay_alu instid0(VALU_DEP_3) | instskip(SKIP_1) | instid1(VALU_DEP_2)
	v_fma_f64 v[164:165], v[18:19], s[14:15], v[162:163]
	v_fma_f64 v[152:153], v[18:19], s[14:15], -v[162:163]
	v_add_f64_e32 v[124:125], v[164:165], v[124:125]
	v_mul_f64_e32 v[164:165], s[34:35], v[102:103]
	s_delay_alu instid0(VALU_DEP_3) | instskip(SKIP_1) | instid1(VALU_DEP_3)
	;; [unrolled: 15-line block ×4, first 2 shown]
	v_add_f64_e32 v[120:121], v[152:153], v[120:121]
	v_mul_f64_e32 v[38:39], s[26:27], v[38:39]
	v_fma_f64 v[174:175], v[4:5], s[22:23], -v[172:173]
	v_fma_f64 v[152:153], v[4:5], s[22:23], v[172:173]
	s_delay_alu instid0(VALU_DEP_2) | instskip(SKIP_1) | instid1(VALU_DEP_3)
	v_add_f64_e32 v[126:127], v[174:175], v[126:127]
	v_mul_f64_e32 v[174:175], s[48:49], v[36:37]
	v_add_f64_e32 v[122:123], v[152:153], v[122:123]
	s_delay_alu instid0(VALU_DEP_2) | instskip(SKIP_1) | instid1(VALU_DEP_2)
	v_fma_f64 v[152:153], v[6:7], s[22:23], -v[174:175]
	v_fma_f64 v[176:177], v[6:7], s[22:23], v[174:175]
	v_add_f64_e32 v[152:153], v[152:153], v[120:121]
	v_fma_f64 v[120:121], v[0:1], s[16:17], v[178:179]
	s_delay_alu instid0(VALU_DEP_3) | instskip(SKIP_1) | instid1(VALU_DEP_3)
	v_add_f64_e32 v[176:177], v[176:177], v[124:125]
	v_fma_f64 v[124:125], v[0:1], s[16:17], -v[178:179]
	v_add_f64_e32 v[120:121], v[120:121], v[122:123]
	v_add_f64_e32 v[122:123], v[154:155], v[152:153]
	v_fma_f64 v[152:153], v[24:25], s[24:25], -v[114:115]
	v_fma_f64 v[114:115], v[24:25], s[24:25], v[114:115]
	v_fma_f64 v[24:25], v[24:25], s[22:23], v[40:41]
	v_add_f64_e32 v[124:125], v[124:125], v[126:127]
	v_fma_f64 v[126:127], v[2:3], s[16:17], v[180:181]
	v_add_f64_e32 v[118:119], v[152:153], v[118:119]
	;; [unrolled: 2-line block ×3, first 2 shown]
	v_fma_f64 v[112:113], v[26:27], s[24:25], -v[112:113]
	v_fma_f64 v[26:27], v[26:27], s[22:23], -v[42:43]
	v_add_f64_e32 v[24:25], v[24:25], v[30:31]
	v_add_f64_e32 v[126:127], v[126:127], v[176:177]
	;; [unrolled: 1-line block ×3, first 2 shown]
	v_fma_f64 v[152:153], v[20:21], s[12:13], -v[110:111]
	v_fma_f64 v[110:111], v[20:21], s[12:13], v[110:111]
	v_add_f64_e32 v[64:65], v[112:113], v[64:65]
	v_fma_f64 v[20:21], v[20:21], s[20:21], v[44:45]
	v_add_f64_e32 v[26:27], v[26:27], v[32:33]
	v_add_f64_e32 v[118:119], v[152:153], v[118:119]
	v_fma_f64 v[152:153], v[22:23], s[12:13], v[108:109]
	v_add_f64_e32 v[66:67], v[110:111], v[66:67]
	v_fma_f64 v[108:109], v[22:23], s[12:13], -v[108:109]
	v_fma_f64 v[22:23], v[22:23], s[20:21], -v[46:47]
	v_add_f64_e32 v[20:21], v[20:21], v[24:25]
	v_add_f64_e32 v[116:117], v[152:153], v[116:117]
	v_fma_f64 v[152:153], v[16:17], s[22:23], -v[106:107]
	v_fma_f64 v[106:107], v[16:17], s[22:23], v[106:107]
	v_add_f64_e32 v[64:65], v[108:109], v[64:65]
	v_fma_f64 v[16:17], v[16:17], s[18:19], v[48:49]
	v_add_f64_e32 v[22:23], v[22:23], v[26:27]
	v_add_f64_e32 v[118:119], v[152:153], v[118:119]
	v_fma_f64 v[152:153], v[18:19], s[22:23], v[104:105]
	v_add_f64_e32 v[66:67], v[106:107], v[66:67]
	v_fma_f64 v[104:105], v[18:19], s[22:23], -v[104:105]
	v_fma_f64 v[18:19], v[18:19], s[18:19], -v[50:51]
	v_add_f64_e32 v[16:17], v[16:17], v[20:21]
	v_add_f64_e32 v[116:117], v[152:153], v[116:117]
	;; [unrolled: 12-line block ×4, first 2 shown]
	v_fma_f64 v[152:153], v[4:5], s[16:17], -v[38:39]
	v_fma_f64 v[38:39], v[4:5], s[16:17], v[38:39]
	v_add_f64_e32 v[54:55], v[54:55], v[64:65]
	v_fma_f64 v[4:5], v[4:5], s[12:13], v[96:97]
	v_add_f64_e32 v[10:11], v[10:11], v[14:15]
	v_add_f64_e32 v[118:119], v[152:153], v[118:119]
	v_mul_f64_e32 v[152:153], s[26:27], v[36:37]
	v_add_f64_e32 v[38:39], v[38:39], v[60:61]
	v_add_f64_e32 v[4:5], v[4:5], v[8:9]
	s_delay_alu instid0(VALU_DEP_3) | instskip(SKIP_2) | instid1(VALU_DEP_3)
	v_fma_f64 v[36:37], v[6:7], s[16:17], v[152:153]
	v_fma_f64 v[60:61], v[6:7], s[16:17], -v[152:153]
	v_fma_f64 v[6:7], v[6:7], s[12:13], -v[98:99]
	v_add_f64_e32 v[36:37], v[36:37], v[116:117]
	v_mul_f64_e32 v[116:117], s[50:51], v[34:35]
	s_delay_alu instid0(VALU_DEP_4) | instskip(NEXT) | instid1(VALU_DEP_4)
	v_add_f64_e32 v[54:55], v[60:61], v[54:55]
	v_add_f64_e32 v[6:7], v[6:7], v[10:11]
	s_delay_alu instid0(VALU_DEP_3) | instskip(SKIP_2) | instid1(VALU_DEP_3)
	v_fma_f64 v[34:35], v[0:1], s[18:19], -v[116:117]
	v_fma_f64 v[60:61], v[0:1], s[18:19], v[116:117]
	v_fma_f64 v[0:1], v[0:1], s[2:3], v[148:149]
	v_add_f64_e32 v[34:35], v[34:35], v[118:119]
	v_fma_f64 v[118:119], v[2:3], s[18:19], v[28:29]
	v_fma_f64 v[28:29], v[2:3], s[18:19], -v[28:29]
	v_fma_f64 v[2:3], v[2:3], s[2:3], -v[150:151]
	v_add_f64_e32 v[64:65], v[60:61], v[38:39]
	v_add_f64_e32 v[0:1], v[0:1], v[4:5]
	v_mul_lo_u16 v4, v200, 17
	s_delay_alu instid0(VALU_DEP_1) | instskip(NEXT) | instid1(VALU_DEP_1)
	v_and_b32_e32 v4, 0xffff, v4
	v_lshlrev_b32_e32 v247, 4, v4
	v_add_f64_e32 v[36:37], v[118:119], v[36:37]
	v_add_f64_e32 v[66:67], v[28:29], v[54:55]
	;; [unrolled: 1-line block ×3, first 2 shown]
	ds_store_b128 v247, v[68:71] offset:16
	ds_store_b128 v247, v[76:79] offset:32
	;; [unrolled: 1-line block ×16, first 2 shown]
	ds_store_b128 v247, v[72:75]
	v_and_b32_e32 v0, 0xff, v200
	s_delay_alu instid0(VALU_DEP_1) | instskip(NEXT) | instid1(VALU_DEP_1)
	v_mul_lo_u16 v0, 0xf1, v0
	v_lshrrev_b16 v0, 12, v0
	scratch_store_b32 off, v0, off offset:364 ; 4-byte Folded Spill
	v_mul_lo_u16 v0, v0, 17
	global_wb scope:SCOPE_SE
	s_wait_storecnt_dscnt 0x0
	s_barrier_signal -1
	s_barrier_wait -1
	global_inv scope:SCOPE_SE
	v_sub_nc_u16 v0, v200, v0
	ds_load_b128 v[2:5], v246 offset:1632
	v_and_b32_e32 v201, 0xff, v0
	s_delay_alu instid0(VALU_DEP_1)
	v_lshlrev_b32_e32 v10, 8, v201
	s_clause 0xc
	global_load_b128 v[6:9], v10, s[10:11]
	global_load_b128 v[11:14], v10, s[10:11] offset:16
	global_load_b128 v[160:163], v10, s[10:11] offset:128
	;; [unrolled: 1-line block ×12, first 2 shown]
	s_wait_loadcnt_dscnt 0xc00
	v_mul_f64_e32 v[0:1], v[4:5], v[8:9]
	scratch_store_b128 off, v[6:9], off offset:284 ; 16-byte Folded Spill
	s_wait_loadcnt 0xb
	scratch_store_b128 off, v[11:14], off offset:300 ; 16-byte Folded Spill
	v_fma_f64 v[0:1], v[2:3], v[6:7], -v[0:1]
	v_mul_f64_e32 v[2:3], v[2:3], v[8:9]
	s_delay_alu instid0(VALU_DEP_1) | instskip(SKIP_3) | instid1(VALU_DEP_1)
	v_fma_f64 v[2:3], v[4:5], v[6:7], v[2:3]
	ds_load_b128 v[4:7], v246 offset:3264
	s_wait_dscnt 0x0
	v_mul_f64_e32 v[8:9], v[6:7], v[13:14]
	v_fma_f64 v[92:93], v[4:5], v[11:12], -v[8:9]
	v_mul_f64_e32 v[4:5], v[4:5], v[13:14]
	s_delay_alu instid0(VALU_DEP_1)
	v_fma_f64 v[94:95], v[6:7], v[11:12], v[4:5]
	global_load_b128 v[11:14], v10, s[10:11] offset:32
	ds_load_b128 v[4:7], v246 offset:4896
	s_wait_loadcnt_dscnt 0x0
	v_mul_f64_e32 v[8:9], v[6:7], v[13:14]
	scratch_store_b128 off, v[11:14], off offset:316 ; 16-byte Folded Spill
	v_fma_f64 v[96:97], v[4:5], v[11:12], -v[8:9]
	v_mul_f64_e32 v[4:5], v[4:5], v[13:14]
	s_delay_alu instid0(VALU_DEP_1)
	v_fma_f64 v[98:99], v[6:7], v[11:12], v[4:5]
	global_load_b128 v[11:14], v10, s[10:11] offset:48
	ds_load_b128 v[4:7], v246 offset:6528
	s_wait_loadcnt_dscnt 0x0
	v_mul_f64_e32 v[8:9], v[6:7], v[13:14]
	scratch_store_b128 off, v[11:14], off offset:332 ; 16-byte Folded Spill
	;; [unrolled: 9-line block ×3, first 2 shown]
	v_fma_f64 v[120:121], v[4:5], v[11:12], -v[8:9]
	v_mul_f64_e32 v[4:5], v[4:5], v[13:14]
	s_delay_alu instid0(VALU_DEP_1) | instskip(SKIP_3) | instid1(VALU_DEP_1)
	v_fma_f64 v[122:123], v[6:7], v[11:12], v[4:5]
	ds_load_b128 v[4:7], v246 offset:9792
	s_wait_dscnt 0x0
	v_mul_f64_e32 v[8:9], v[6:7], v[150:151]
	v_fma_f64 v[106:107], v[4:5], v[148:149], -v[8:9]
	v_mul_f64_e32 v[4:5], v[4:5], v[150:151]
	s_delay_alu instid0(VALU_DEP_1) | instskip(SKIP_3) | instid1(VALU_DEP_1)
	v_fma_f64 v[104:105], v[6:7], v[148:149], v[4:5]
	ds_load_b128 v[4:7], v246 offset:11424
	s_wait_dscnt 0x0
	v_mul_f64_e32 v[8:9], v[6:7], v[154:155]
	;; [unrolled: 7-line block ×4, first 2 shown]
	v_fma_f64 v[204:205], v[4:5], v[160:161], -v[8:9]
	v_mul_f64_e32 v[4:5], v[4:5], v[162:163]
	s_delay_alu instid0(VALU_DEP_2) | instskip(NEXT) | instid1(VALU_DEP_2)
	v_add_f64_e64 v[252:253], v[22:23], -v[204:205]
	v_fma_f64 v[206:207], v[6:7], v[160:161], v[4:5]
	ds_load_b128 v[4:7], v246 offset:16320
	s_wait_dscnt 0x0
	v_mul_f64_e32 v[8:9], v[6:7], v[166:167]
	v_mul_f64_e32 v[138:139], s[46:47], v[252:253]
	s_delay_alu instid0(VALU_DEP_2) | instskip(SKIP_1) | instid1(VALU_DEP_2)
	v_fma_f64 v[208:209], v[4:5], v[164:165], -v[8:9]
	v_mul_f64_e32 v[4:5], v[4:5], v[166:167]
	v_add_f64_e64 v[250:251], v[176:177], -v[208:209]
	s_delay_alu instid0(VALU_DEP_2) | instskip(SKIP_4) | instid1(VALU_DEP_2)
	v_fma_f64 v[210:211], v[6:7], v[164:165], v[4:5]
	ds_load_b128 v[4:7], v246 offset:17952
	s_wait_dscnt 0x0
	v_mul_f64_e32 v[8:9], v[6:7], v[170:171]
	v_add_f64_e64 v[128:129], v[178:179], -v[210:211]
	v_fma_f64 v[212:213], v[4:5], v[168:169], -v[8:9]
	v_mul_f64_e32 v[4:5], v[4:5], v[170:171]
	s_delay_alu instid0(VALU_DEP_1) | instskip(SKIP_3) | instid1(VALU_DEP_1)
	v_fma_f64 v[214:215], v[6:7], v[168:169], v[4:5]
	ds_load_b128 v[4:7], v246 offset:19584
	s_wait_dscnt 0x0
	v_mul_f64_e32 v[8:9], v[6:7], v[174:175]
	v_fma_f64 v[216:217], v[4:5], v[172:173], -v[8:9]
	v_mul_f64_e32 v[4:5], v[4:5], v[174:175]
	s_delay_alu instid0(VALU_DEP_1) | instskip(SKIP_3) | instid1(VALU_DEP_1)
	v_fma_f64 v[218:219], v[6:7], v[172:173], v[4:5]
	ds_load_b128 v[4:7], v246 offset:21216
	s_wait_dscnt 0x0
	v_mul_f64_e32 v[8:9], v[6:7], v[186:187]
	;; [unrolled: 7-line block ×3, first 2 shown]
	v_fma_f64 v[224:225], v[4:5], v[188:189], -v[8:9]
	v_mul_f64_e32 v[4:5], v[4:5], v[190:191]
	s_delay_alu instid0(VALU_DEP_1) | instskip(SKIP_4) | instid1(VALU_DEP_2)
	v_fma_f64 v[226:227], v[6:7], v[188:189], v[4:5]
	ds_load_b128 v[4:7], v246 offset:24480
	s_wait_dscnt 0x0
	v_mul_f64_e32 v[8:9], v[6:7], v[194:195]
	v_add_f64_e32 v[240:241], v[98:99], v[226:227]
	v_fma_f64 v[228:229], v[4:5], v[192:193], -v[8:9]
	v_mul_f64_e32 v[4:5], v[4:5], v[194:195]
	s_delay_alu instid0(VALU_DEP_2) | instskip(NEXT) | instid1(VALU_DEP_2)
	v_add_f64_e32 v[244:245], v[92:93], v[228:229]
	v_fma_f64 v[230:231], v[6:7], v[192:193], v[4:5]
	ds_load_b128 v[4:7], v246 offset:26112
	s_wait_dscnt 0x0
	v_mul_f64_e32 v[8:9], v[4:5], v[182:183]
	v_add_f64_e32 v[248:249], v[94:95], v[230:231]
	s_delay_alu instid0(VALU_DEP_2) | instskip(SKIP_1) | instid1(VALU_DEP_2)
	v_fma_f64 v[232:233], v[6:7], v[180:181], v[8:9]
	v_mul_f64_e32 v[6:7], v[6:7], v[182:183]
	v_add_f64_e32 v[54:55], v[2:3], v[232:233]
	s_delay_alu instid0(VALU_DEP_2) | instskip(SKIP_1) | instid1(VALU_DEP_2)
	v_fma_f64 v[234:235], v[4:5], v[180:181], -v[6:7]
	v_add_f64_e64 v[4:5], v[2:3], -v[232:233]
	v_add_f64_e32 v[20:21], v[0:1], v[234:235]
	s_delay_alu instid0(VALU_DEP_2)
	v_mul_f64_e32 v[6:7], s[34:35], v[4:5]
	v_mul_f64_e32 v[8:9], s[40:41], v[4:5]
	;; [unrolled: 1-line block ×8, first 2 shown]
	v_fma_f64 v[24:25], v[20:21], s[24:25], -v[6:7]
	v_fma_f64 v[26:27], v[20:21], s[24:25], v[6:7]
	v_fma_f64 v[28:29], v[20:21], s[22:23], -v[8:9]
	v_fma_f64 v[8:9], v[20:21], s[22:23], v[8:9]
	;; [unrolled: 2-line block ×8, first 2 shown]
	v_add_f64_e64 v[4:5], v[0:1], -v[234:235]
	s_delay_alu instid0(VALU_DEP_1)
	v_mul_f64_e32 v[6:7], s[34:35], v[4:5]
	v_mul_f64_e32 v[42:43], s[40:41], v[4:5]
	;; [unrolled: 1-line block ×8, first 2 shown]
	v_fma_f64 v[56:57], v[54:55], s[24:25], v[6:7]
	v_fma_f64 v[58:59], v[54:55], s[24:25], -v[6:7]
	v_fma_f64 v[60:61], v[54:55], s[22:23], v[42:43]
	v_fma_f64 v[42:43], v[54:55], s[22:23], -v[42:43]
	;; [unrolled: 2-line block ×8, first 2 shown]
	ds_load_b128 v[4:7], v246
	s_wait_dscnt 0x0
	v_add_f64_e32 v[74:75], v[4:5], v[8:9]
	v_add_f64_e32 v[8:9], v[4:5], v[18:19]
	;; [unrolled: 1-line block ×24, first 2 shown]
	v_add_f64_e64 v[16:17], v[98:99], -v[226:227]
	v_add_f64_e64 v[18:19], v[96:97], -v[224:225]
	;; [unrolled: 1-line block ×8, first 2 shown]
	v_add_f64_e32 v[64:65], v[22:23], v[204:205]
	scratch_store_b64 off, v[8:9], off offset:472 ; 8-byte Folded Spill
	v_add_f64_e32 v[8:9], v[6:7], v[52:53]
	v_mul_f64_e32 v[52:53], s[30:31], v[128:129]
	v_mul_f64_e32 v[254:255], s[42:43], v[16:17]
	;; [unrolled: 1-line block ×6, first 2 shown]
	scratch_store_b64 off, v[8:9], off offset:464 ; 8-byte Folded Spill
	v_add_f64_e32 v[8:9], v[4:5], v[40:41]
	scratch_store_b64 off, v[0:1], off offset:384 ; 8-byte Folded Spill
	v_add_f64_e32 v[0:1], v[6:7], v[2:3]
	v_add_f64_e32 v[2:3], v[6:7], v[56:57]
	v_mul_f64_e32 v[56:57], s[30:31], v[250:251]
	scratch_store_b64 off, v[8:9], off offset:456 ; 8-byte Folded Spill
	v_add_f64_e32 v[8:9], v[6:7], v[124:125]
	scratch_store_b64 off, v[0:1], off offset:392 ; 8-byte Folded Spill
	v_add_f64_e32 v[0:1], v[4:5], v[24:25]
	v_add_f64_e32 v[24:25], v[4:5], v[26:27]
	;; [unrolled: 1-line block ×3, first 2 shown]
	v_mul_f64_e32 v[26:27], s[26:27], v[44:45]
	s_clause 0x2
	scratch_store_b64 off, v[8:9], off offset:448
	scratch_store_b64 off, v[24:25], off offset:368
	;; [unrolled: 1-line block ×3, first 2 shown]
	v_add_f64_e32 v[24:25], v[6:7], v[58:59]
	v_add_f64_e32 v[4:5], v[6:7], v[54:55]
	s_clause 0x2
	scratch_store_b64 off, v[24:25], off offset:376
	scratch_store_b64 off, v[4:5], off offset:440
	;; [unrolled: 1-line block ×3, first 2 shown]
	v_add_f64_e64 v[4:5], v[94:95], -v[230:231]
	s_clause 0x2
	scratch_store_b64 off, v[96:97], off offset:480
	scratch_store_b64 off, v[100:101], off offset:496
	;; [unrolled: 1-line block ×3, first 2 shown]
	v_mul_f64_e32 v[6:7], s[40:41], v[4:5]
	s_clause 0x1
	scratch_store_b64 off, v[92:93], off offset:416
	scratch_store_b64 off, v[6:7], off offset:400
	v_fma_f64 v[6:7], v[244:245], s[22:23], -v[6:7]
	s_delay_alu instid0(VALU_DEP_1) | instskip(SKIP_1) | instid1(VALU_DEP_1)
	v_add_f64_e32 v[8:9], v[6:7], v[0:1]
	v_add_f64_e64 v[6:7], v[92:93], -v[228:229]
	v_mul_f64_e32 v[0:1], s[40:41], v[6:7]
	scratch_store_b64 off, v[0:1], off offset:408 ; 8-byte Folded Spill
	v_fma_f64 v[0:1], v[248:249], s[22:23], v[0:1]
	s_delay_alu instid0(VALU_DEP_1) | instskip(SKIP_1) | instid1(VALU_DEP_1)
	v_add_f64_e32 v[2:3], v[0:1], v[2:3]
	v_add_f64_e32 v[0:1], v[96:97], v[224:225]
	v_fma_f64 v[10:11], v[0:1], s[20:21], -v[254:255]
	s_delay_alu instid0(VALU_DEP_1) | instskip(SKIP_2) | instid1(VALU_DEP_2)
	v_add_f64_e32 v[12:13], v[10:11], v[8:9]
	v_fma_f64 v[8:9], v[240:241], s[20:21], v[242:243]
	v_mul_f64_e32 v[10:11], s[38:39], v[32:33]
	v_add_f64_e32 v[2:3], v[8:9], v[2:3]
	v_add_f64_e32 v[8:9], v[100:101], v[220:221]
	s_delay_alu instid0(VALU_DEP_1) | instskip(NEXT) | instid1(VALU_DEP_1)
	v_fma_f64 v[14:15], v[8:9], s[18:19], -v[10:11]
	v_add_f64_e32 v[20:21], v[14:15], v[12:13]
	v_add_f64_e32 v[12:13], v[118:119], v[222:223]
	v_mul_f64_e32 v[14:15], s[38:39], v[34:35]
	s_delay_alu instid0(VALU_DEP_1) | instskip(NEXT) | instid1(VALU_DEP_1)
	v_fma_f64 v[24:25], v[12:13], s[18:19], v[14:15]
	v_add_f64_e32 v[2:3], v[24:25], v[2:3]
	v_add_f64_e32 v[24:25], v[120:121], v[216:217]
	s_delay_alu instid0(VALU_DEP_1) | instskip(NEXT) | instid1(VALU_DEP_1)
	v_fma_f64 v[28:29], v[24:25], s[16:17], -v[26:27]
	v_add_f64_e32 v[20:21], v[28:29], v[20:21]
	v_add_f64_e32 v[28:29], v[122:123], v[218:219]
	s_delay_alu instid0(VALU_DEP_1) | instskip(NEXT) | instid1(VALU_DEP_1)
	v_fma_f64 v[36:37], v[28:29], s[16:17], v[30:31]
	v_add_f64_e32 v[2:3], v[36:37], v[2:3]
	v_add_f64_e32 v[36:37], v[106:107], v[212:213]
	s_delay_alu instid0(VALU_DEP_1) | instskip(NEXT) | instid1(VALU_DEP_1)
	v_fma_f64 v[40:41], v[36:37], s[14:15], -v[38:39]
	v_add_f64_e32 v[20:21], v[40:41], v[20:21]
	v_add_f64_e32 v[40:41], v[104:105], v[214:215]
	;; [unrolled: 8-line block ×3, first 2 shown]
	s_delay_alu instid0(VALU_DEP_1) | instskip(NEXT) | instid1(VALU_DEP_1)
	v_fma_f64 v[20:21], v[54:55], s[12:13], v[56:57]
	v_add_f64_e32 v[70:71], v[20:21], v[2:3]
	v_add_f64_e64 v[20:21], v[202:203], -v[206:207]
	s_delay_alu instid0(VALU_DEP_1) | instskip(SKIP_1) | instid1(VALU_DEP_2)
	v_mul_f64_e32 v[66:67], s[36:37], v[20:21]
	v_mul_f64_e32 v[136:137], s[46:47], v[20:21]
	v_fma_f64 v[2:3], v[64:65], s[2:3], -v[66:67]
	s_delay_alu instid0(VALU_DEP_1) | instskip(SKIP_2) | instid1(VALU_DEP_1)
	v_add_f64_e32 v[68:69], v[2:3], v[58:59]
	v_add_f64_e32 v[58:59], v[202:203], v[206:207]
	v_mul_f64_e32 v[2:3], s[36:37], v[252:253]
	v_fma_f64 v[114:115], v[58:59], s[2:3], v[2:3]
	v_fma_f64 v[2:3], v[58:59], s[2:3], -v[2:3]
	s_delay_alu instid0(VALU_DEP_2) | instskip(SKIP_1) | instid1(VALU_DEP_1)
	v_add_f64_e32 v[70:71], v[114:115], v[70:71]
	v_mul_f64_e32 v[114:115], s[38:39], v[4:5]
	v_fma_f64 v[124:125], v[244:245], s[18:19], -v[114:115]
	s_delay_alu instid0(VALU_DEP_1) | instskip(SKIP_1) | instid1(VALU_DEP_1)
	v_add_f64_e32 v[78:79], v[124:125], v[78:79]
	v_mul_f64_e32 v[124:125], s[38:39], v[6:7]
	v_fma_f64 v[126:127], v[248:249], s[18:19], v[124:125]
	s_delay_alu instid0(VALU_DEP_1) | instskip(SKIP_1) | instid1(VALU_DEP_1)
	v_add_f64_e32 v[76:77], v[126:127], v[76:77]
	v_mul_f64_e32 v[126:127], s[28:29], v[16:17]
	v_fma_f64 v[132:133], v[0:1], s[14:15], -v[126:127]
	s_delay_alu instid0(VALU_DEP_1) | instskip(SKIP_1) | instid1(VALU_DEP_1)
	v_add_f64_e32 v[78:79], v[132:133], v[78:79]
	v_mul_f64_e32 v[132:133], s[28:29], v[18:19]
	v_fma_f64 v[134:135], v[240:241], s[14:15], v[132:133]
	s_delay_alu instid0(VALU_DEP_1) | instskip(SKIP_1) | instid1(VALU_DEP_1)
	;; [unrolled: 8-line block ×5, first 2 shown]
	v_add_f64_e32 v[76:77], v[198:199], v[76:77]
	v_mul_f64_e32 v[198:199], s[44:45], v[128:129]
	v_fma_f64 v[92:93], v[48:49], s[20:21], -v[198:199]
	s_delay_alu instid0(VALU_DEP_1) | instskip(SKIP_1) | instid1(VALU_DEP_1)
	v_add_f64_e32 v[78:79], v[92:93], v[78:79]
	v_mul_f64_e32 v[92:93], s[44:45], v[250:251]
	v_fma_f64 v[94:95], v[54:55], s[20:21], v[92:93]
	v_fma_f64 v[92:93], v[54:55], s[20:21], -v[92:93]
	s_delay_alu instid0(VALU_DEP_2) | instskip(SKIP_1) | instid1(VALU_DEP_1)
	v_add_f64_e32 v[94:95], v[94:95], v[76:77]
	v_fma_f64 v[76:77], v[64:65], s[24:25], -v[136:137]
	v_add_f64_e32 v[76:77], v[76:77], v[78:79]
	v_fma_f64 v[78:79], v[58:59], s[24:25], v[138:139]
	s_delay_alu instid0(VALU_DEP_1) | instskip(SKIP_1) | instid1(VALU_DEP_1)
	v_add_f64_e32 v[78:79], v[78:79], v[94:95]
	v_fma_f64 v[94:95], v[244:245], s[18:19], v[114:115]
	v_add_f64_e32 v[74:75], v[94:95], v[74:75]
	v_fma_f64 v[94:95], v[248:249], s[18:19], -v[124:125]
	s_delay_alu instid0(VALU_DEP_1) | instskip(SKIP_1) | instid1(VALU_DEP_1)
	v_add_f64_e32 v[72:73], v[94:95], v[72:73]
	v_fma_f64 v[94:95], v[0:1], s[14:15], v[126:127]
	v_add_f64_e32 v[74:75], v[94:95], v[74:75]
	v_fma_f64 v[94:95], v[240:241], s[14:15], -v[132:133]
	;; [unrolled: 5-line block ×5, first 2 shown]
	v_mul_f64_e32 v[196:197], s[30:31], v[20:21]
	s_delay_alu instid0(VALU_DEP_2) | instskip(SKIP_2) | instid1(VALU_DEP_3)
	v_add_f64_e32 v[72:73], v[94:95], v[72:73]
	v_fma_f64 v[94:95], v[48:49], s[20:21], v[198:199]
	v_mul_f64_e32 v[198:199], s[30:31], v[252:253]
	v_add_f64_e32 v[92:93], v[92:93], v[72:73]
	s_delay_alu instid0(VALU_DEP_3) | instskip(SKIP_2) | instid1(VALU_DEP_2)
	v_add_f64_e32 v[74:75], v[94:95], v[74:75]
	v_fma_f64 v[72:73], v[64:65], s[24:25], v[136:137]
	v_fma_f64 v[94:95], v[58:59], s[24:25], -v[138:139]
	v_add_f64_e32 v[72:73], v[72:73], v[74:75]
	s_delay_alu instid0(VALU_DEP_2) | instskip(SKIP_1) | instid1(VALU_DEP_1)
	v_add_f64_e32 v[74:75], v[94:95], v[92:93]
	v_mul_f64_e32 v[92:93], s[28:29], v[4:5]
	v_fma_f64 v[94:95], v[244:245], s[14:15], -v[92:93]
	v_fma_f64 v[92:93], v[244:245], s[14:15], v[92:93]
	s_delay_alu instid0(VALU_DEP_2) | instskip(SKIP_1) | instid1(VALU_DEP_3)
	v_add_f64_e32 v[86:87], v[94:95], v[86:87]
	v_mul_f64_e32 v[94:95], s[28:29], v[6:7]
	v_add_f64_e32 v[90:91], v[92:93], v[90:91]
	s_delay_alu instid0(VALU_DEP_2) | instskip(SKIP_1) | instid1(VALU_DEP_2)
	v_fma_f64 v[96:97], v[248:249], s[14:15], v[94:95]
	v_fma_f64 v[92:93], v[248:249], s[14:15], -v[94:95]
	v_add_f64_e32 v[84:85], v[96:97], v[84:85]
	v_mul_f64_e32 v[96:97], s[58:59], v[16:17]
	s_delay_alu instid0(VALU_DEP_3) | instskip(NEXT) | instid1(VALU_DEP_2)
	v_add_f64_e32 v[92:93], v[92:93], v[112:113]
	v_fma_f64 v[98:99], v[0:1], s[2:3], -v[96:97]
	v_fma_f64 v[94:95], v[0:1], s[2:3], v[96:97]
	v_fma_f64 v[96:97], v[58:59], s[12:13], -v[198:199]
	s_delay_alu instid0(VALU_DEP_3) | instskip(SKIP_1) | instid1(VALU_DEP_4)
	v_add_f64_e32 v[86:87], v[98:99], v[86:87]
	v_mul_f64_e32 v[98:99], s[58:59], v[18:19]
	v_add_f64_e32 v[90:91], v[94:95], v[90:91]
	s_delay_alu instid0(VALU_DEP_2) | instskip(SKIP_2) | instid1(VALU_DEP_3)
	v_fma_f64 v[100:101], v[240:241], s[2:3], v[98:99]
	v_fma_f64 v[94:95], v[240:241], s[2:3], -v[98:99]
	v_mul_f64_e32 v[98:99], s[52:53], v[18:19]
	v_add_f64_e32 v[84:85], v[100:101], v[84:85]
	v_mul_f64_e32 v[100:101], s[52:53], v[32:33]
	s_delay_alu instid0(VALU_DEP_4) | instskip(NEXT) | instid1(VALU_DEP_2)
	v_add_f64_e32 v[92:93], v[94:95], v[92:93]
	v_fma_f64 v[102:103], v[8:9], s[16:17], -v[100:101]
	v_fma_f64 v[94:95], v[8:9], s[16:17], v[100:101]
	v_mul_f64_e32 v[100:101], s[46:47], v[32:33]
	s_delay_alu instid0(VALU_DEP_3) | instskip(SKIP_1) | instid1(VALU_DEP_4)
	v_add_f64_e32 v[86:87], v[102:103], v[86:87]
	v_mul_f64_e32 v[102:103], s[52:53], v[34:35]
	v_add_f64_e32 v[90:91], v[94:95], v[90:91]
	s_delay_alu instid0(VALU_DEP_2) | instskip(SKIP_2) | instid1(VALU_DEP_3)
	v_fma_f64 v[114:115], v[12:13], s[16:17], v[102:103]
	v_fma_f64 v[94:95], v[12:13], s[16:17], -v[102:103]
	v_mul_f64_e32 v[102:103], s[46:47], v[34:35]
	v_add_f64_e32 v[84:85], v[114:115], v[84:85]
	v_mul_f64_e32 v[114:115], s[48:49], v[44:45]
	s_delay_alu instid0(VALU_DEP_4) | instskip(NEXT) | instid1(VALU_DEP_2)
	v_add_f64_e32 v[92:93], v[94:95], v[92:93]
	v_fma_f64 v[124:125], v[24:25], s[22:23], -v[114:115]
	v_fma_f64 v[94:95], v[24:25], s[22:23], v[114:115]
	s_delay_alu instid0(VALU_DEP_2) | instskip(SKIP_1) | instid1(VALU_DEP_3)
	v_add_f64_e32 v[86:87], v[124:125], v[86:87]
	v_mul_f64_e32 v[124:125], s[48:49], v[46:47]
	v_add_f64_e32 v[90:91], v[94:95], v[90:91]
	s_delay_alu instid0(VALU_DEP_2) | instskip(SKIP_2) | instid1(VALU_DEP_3)
	v_fma_f64 v[126:127], v[28:29], s[22:23], v[124:125]
	v_fma_f64 v[94:95], v[28:29], s[22:23], -v[124:125]
	v_mul_f64_e32 v[124:125], s[42:43], v[44:45]
	v_add_f64_e32 v[84:85], v[126:127], v[84:85]
	v_mul_f64_e32 v[126:127], s[34:35], v[60:61]
	s_delay_alu instid0(VALU_DEP_4) | instskip(NEXT) | instid1(VALU_DEP_2)
	v_add_f64_e32 v[92:93], v[94:95], v[92:93]
	v_fma_f64 v[132:133], v[36:37], s[24:25], -v[126:127]
	v_fma_f64 v[94:95], v[36:37], s[24:25], v[126:127]
	v_mul_f64_e32 v[126:127], s[42:43], v[46:47]
	s_delay_alu instid0(VALU_DEP_3) | instskip(SKIP_1) | instid1(VALU_DEP_4)
	v_add_f64_e32 v[86:87], v[132:133], v[86:87]
	v_mul_f64_e32 v[132:133], s[34:35], v[62:63]
	v_add_f64_e32 v[90:91], v[94:95], v[90:91]
	s_delay_alu instid0(VALU_DEP_2) | instskip(SKIP_2) | instid1(VALU_DEP_3)
	v_fma_f64 v[134:135], v[40:41], s[24:25], v[132:133]
	v_fma_f64 v[94:95], v[40:41], s[24:25], -v[132:133]
	v_mul_f64_e32 v[132:133], s[30:31], v[60:61]
	v_add_f64_e32 v[84:85], v[134:135], v[84:85]
	v_mul_f64_e32 v[134:135], s[38:39], v[128:129]
	s_delay_alu instid0(VALU_DEP_4) | instskip(NEXT) | instid1(VALU_DEP_2)
	v_add_f64_e32 v[92:93], v[94:95], v[92:93]
	v_fma_f64 v[136:137], v[48:49], s[18:19], -v[134:135]
	v_fma_f64 v[94:95], v[48:49], s[18:19], v[134:135]
	v_mul_f64_e32 v[134:135], s[30:31], v[62:63]
	s_delay_alu instid0(VALU_DEP_3) | instskip(SKIP_1) | instid1(VALU_DEP_4)
	v_add_f64_e32 v[86:87], v[136:137], v[86:87]
	v_mul_f64_e32 v[136:137], s[38:39], v[250:251]
	v_add_f64_e32 v[90:91], v[94:95], v[90:91]
	s_delay_alu instid0(VALU_DEP_2) | instskip(SKIP_2) | instid1(VALU_DEP_3)
	v_fma_f64 v[94:95], v[54:55], s[18:19], -v[136:137]
	v_fma_f64 v[138:139], v[54:55], s[18:19], v[136:137]
	v_mul_f64_e32 v[136:137], s[54:55], v[128:129]
	v_add_f64_e32 v[92:93], v[94:95], v[92:93]
	v_fma_f64 v[94:95], v[64:65], s[12:13], v[196:197]
	s_delay_alu instid0(VALU_DEP_4)
	v_add_f64_e32 v[138:139], v[138:139], v[84:85]
	v_fma_f64 v[84:85], v[64:65], s[12:13], -v[196:197]
	v_mul_f64_e32 v[196:197], s[48:49], v[20:21]
	v_add_f64_e32 v[114:115], v[96:97], v[92:93]
	v_mul_f64_e32 v[92:93], s[36:37], v[4:5]
	v_add_f64_e32 v[112:113], v[94:95], v[90:91]
	v_mul_f64_e32 v[94:95], s[36:37], v[6:7]
	v_mul_f64_e32 v[96:97], s[52:53], v[16:17]
	v_add_f64_e32 v[84:85], v[84:85], v[86:87]
	v_fma_f64 v[86:87], v[58:59], s[12:13], v[198:199]
	v_fma_f64 v[90:91], v[244:245], s[2:3], -v[92:93]
	v_fma_f64 v[92:93], v[244:245], s[2:3], v[92:93]
	s_delay_alu instid0(VALU_DEP_3) | instskip(SKIP_1) | instid1(VALU_DEP_4)
	v_add_f64_e32 v[86:87], v[86:87], v[138:139]
	v_mul_f64_e32 v[138:139], s[54:55], v[250:251]
	v_add_f64_e32 v[50:51], v[90:91], v[50:51]
	v_fma_f64 v[90:91], v[248:249], s[2:3], v[94:95]
	v_add_f64_e32 v[82:83], v[92:93], v[82:83]
	v_fma_f64 v[92:93], v[248:249], s[2:3], -v[94:95]
	s_delay_alu instid0(VALU_DEP_3) | instskip(SKIP_1) | instid1(VALU_DEP_3)
	v_add_f64_e32 v[88:89], v[90:91], v[88:89]
	v_fma_f64 v[90:91], v[0:1], s[16:17], -v[96:97]
	v_add_f64_e32 v[80:81], v[92:93], v[80:81]
	v_fma_f64 v[92:93], v[0:1], s[16:17], v[96:97]
	v_mul_f64_e32 v[96:97], s[56:57], v[6:7]
	s_delay_alu instid0(VALU_DEP_4) | instskip(SKIP_1) | instid1(VALU_DEP_4)
	v_add_f64_e32 v[50:51], v[90:91], v[50:51]
	v_fma_f64 v[90:91], v[240:241], s[16:17], v[98:99]
	v_add_f64_e32 v[82:83], v[92:93], v[82:83]
	v_fma_f64 v[92:93], v[240:241], s[16:17], -v[98:99]
	v_mul_f64_e32 v[98:99], s[48:49], v[16:17]
	v_fma_f64 v[94:95], v[248:249], s[12:13], v[96:97]
	v_fma_f64 v[96:97], v[248:249], s[12:13], -v[96:97]
	v_add_f64_e32 v[88:89], v[90:91], v[88:89]
	v_fma_f64 v[90:91], v[8:9], s[24:25], -v[100:101]
	v_add_f64_e32 v[80:81], v[92:93], v[80:81]
	v_fma_f64 v[92:93], v[8:9], s[24:25], v[100:101]
	v_fma_f64 v[100:101], v[0:1], s[22:23], -v[98:99]
	v_add_f64_e32 v[94:95], v[94:95], v[236:237]
	v_fma_f64 v[98:99], v[0:1], s[22:23], v[98:99]
	v_add_f64_e32 v[96:97], v[96:97], v[116:117]
	v_add_f64_e32 v[50:51], v[90:91], v[50:51]
	v_fma_f64 v[90:91], v[12:13], s[24:25], v[102:103]
	v_add_f64_e32 v[82:83], v[92:93], v[82:83]
	v_fma_f64 v[92:93], v[12:13], s[24:25], -v[102:103]
	s_delay_alu instid0(VALU_DEP_3) | instskip(SKIP_1) | instid1(VALU_DEP_3)
	v_add_f64_e32 v[88:89], v[90:91], v[88:89]
	v_fma_f64 v[90:91], v[24:25], s[20:21], -v[124:125]
	v_add_f64_e32 v[80:81], v[92:93], v[80:81]
	v_fma_f64 v[92:93], v[24:25], s[20:21], v[124:125]
	s_delay_alu instid0(VALU_DEP_3) | instskip(SKIP_1) | instid1(VALU_DEP_3)
	v_add_f64_e32 v[50:51], v[90:91], v[50:51]
	v_fma_f64 v[90:91], v[28:29], s[20:21], v[126:127]
	v_add_f64_e32 v[82:83], v[92:93], v[82:83]
	v_fma_f64 v[92:93], v[28:29], s[20:21], -v[126:127]
	s_delay_alu instid0(VALU_DEP_3) | instskip(SKIP_1) | instid1(VALU_DEP_3)
	v_add_f64_e32 v[88:89], v[90:91], v[88:89]
	v_fma_f64 v[90:91], v[36:37], s[12:13], -v[132:133]
	v_add_f64_e32 v[80:81], v[92:93], v[80:81]
	v_fma_f64 v[92:93], v[36:37], s[12:13], v[132:133]
	s_delay_alu instid0(VALU_DEP_3) | instskip(SKIP_1) | instid1(VALU_DEP_3)
	;; [unrolled: 10-line block ×4, first 2 shown]
	v_add_f64_e32 v[88:89], v[88:89], v[50:51]
	v_mul_f64_e32 v[50:51], s[48:49], v[252:253]
	v_add_f64_e32 v[80:81], v[80:81], v[82:83]
	s_delay_alu instid0(VALU_DEP_2) | instskip(SKIP_1) | instid1(VALU_DEP_2)
	v_fma_f64 v[198:199], v[58:59], s[22:23], v[50:51]
	v_fma_f64 v[50:51], v[58:59], s[22:23], -v[50:51]
	v_add_f64_e32 v[90:91], v[198:199], v[90:91]
	s_delay_alu instid0(VALU_DEP_2) | instskip(SKIP_1) | instid1(VALU_DEP_1)
	v_add_f64_e32 v[82:83], v[50:51], v[92:93]
	v_mul_f64_e32 v[50:51], s[56:57], v[4:5]
	v_fma_f64 v[92:93], v[244:245], s[12:13], -v[50:51]
	v_fma_f64 v[50:51], v[244:245], s[12:13], v[50:51]
	s_delay_alu instid0(VALU_DEP_2) | instskip(NEXT) | instid1(VALU_DEP_2)
	v_add_f64_e32 v[92:93], v[92:93], v[238:239]
	v_add_f64_e32 v[50:51], v[50:51], v[130:131]
	s_delay_alu instid0(VALU_DEP_2) | instskip(SKIP_1) | instid1(VALU_DEP_3)
	v_add_f64_e32 v[92:93], v[100:101], v[92:93]
	v_mul_f64_e32 v[100:101], s[48:49], v[18:19]
	v_add_f64_e32 v[50:51], v[98:99], v[50:51]
	s_delay_alu instid0(VALU_DEP_2) | instskip(SKIP_1) | instid1(VALU_DEP_2)
	v_fma_f64 v[102:103], v[240:241], s[22:23], v[100:101]
	v_fma_f64 v[98:99], v[240:241], s[22:23], -v[100:101]
	v_add_f64_e32 v[94:95], v[102:103], v[94:95]
	v_mul_f64_e32 v[102:103], s[42:43], v[32:33]
	s_delay_alu instid0(VALU_DEP_3) | instskip(NEXT) | instid1(VALU_DEP_2)
	v_add_f64_e32 v[96:97], v[98:99], v[96:97]
	v_fma_f64 v[124:125], v[8:9], s[20:21], -v[102:103]
	v_fma_f64 v[98:99], v[8:9], s[20:21], v[102:103]
	v_mul_f64_e32 v[102:103], s[34:35], v[16:17]
	s_delay_alu instid0(VALU_DEP_3) | instskip(SKIP_1) | instid1(VALU_DEP_4)
	v_add_f64_e32 v[92:93], v[124:125], v[92:93]
	v_mul_f64_e32 v[124:125], s[42:43], v[34:35]
	v_add_f64_e32 v[50:51], v[98:99], v[50:51]
	s_delay_alu instid0(VALU_DEP_2) | instskip(SKIP_3) | instid1(VALU_DEP_4)
	v_fma_f64 v[126:127], v[12:13], s[20:21], v[124:125]
	v_fma_f64 v[98:99], v[12:13], s[20:21], -v[124:125]
	v_fma_f64 v[124:125], v[0:1], s[24:25], -v[102:103]
	v_fma_f64 v[102:103], v[0:1], s[24:25], v[102:103]
	v_add_f64_e32 v[94:95], v[126:127], v[94:95]
	v_mul_f64_e32 v[126:127], s[36:37], v[44:45]
	v_add_f64_e32 v[96:97], v[98:99], v[96:97]
	s_delay_alu instid0(VALU_DEP_2) | instskip(SKIP_1) | instid1(VALU_DEP_2)
	v_fma_f64 v[132:133], v[24:25], s[2:3], -v[126:127]
	v_fma_f64 v[98:99], v[24:25], s[2:3], v[126:127]
	v_add_f64_e32 v[92:93], v[132:133], v[92:93]
	v_mul_f64_e32 v[132:133], s[36:37], v[46:47]
	s_delay_alu instid0(VALU_DEP_3) | instskip(NEXT) | instid1(VALU_DEP_2)
	v_add_f64_e32 v[50:51], v[98:99], v[50:51]
	v_fma_f64 v[134:135], v[28:29], s[2:3], v[132:133]
	v_fma_f64 v[98:99], v[28:29], s[2:3], -v[132:133]
	s_delay_alu instid0(VALU_DEP_2) | instskip(SKIP_1) | instid1(VALU_DEP_3)
	v_add_f64_e32 v[94:95], v[134:135], v[94:95]
	v_mul_f64_e32 v[134:135], s[50:51], v[60:61]
	v_add_f64_e32 v[96:97], v[98:99], v[96:97]
	s_delay_alu instid0(VALU_DEP_2) | instskip(SKIP_1) | instid1(VALU_DEP_2)
	v_fma_f64 v[136:137], v[36:37], s[18:19], -v[134:135]
	v_fma_f64 v[98:99], v[36:37], s[18:19], v[134:135]
	v_add_f64_e32 v[92:93], v[136:137], v[92:93]
	v_mul_f64_e32 v[136:137], s[50:51], v[62:63]
	s_delay_alu instid0(VALU_DEP_3) | instskip(NEXT) | instid1(VALU_DEP_2)
	v_add_f64_e32 v[50:51], v[98:99], v[50:51]
	v_fma_f64 v[138:139], v[40:41], s[18:19], v[136:137]
	v_fma_f64 v[98:99], v[40:41], s[18:19], -v[136:137]
	s_delay_alu instid0(VALU_DEP_2) | instskip(SKIP_1) | instid1(VALU_DEP_3)
	;; [unrolled: 13-line block ×3, first 2 shown]
	v_add_f64_e32 v[94:95], v[198:199], v[94:95]
	v_mul_f64_e32 v[198:199], s[28:29], v[20:21]
	v_add_f64_e32 v[96:97], v[98:99], v[96:97]
	s_delay_alu instid0(VALU_DEP_2) | instskip(SKIP_1) | instid1(VALU_DEP_2)
	v_fma_f64 v[238:239], v[64:65], s[14:15], -v[198:199]
	v_fma_f64 v[98:99], v[64:65], s[14:15], v[198:199]
	v_add_f64_e32 v[92:93], v[238:239], v[92:93]
	v_mul_f64_e32 v[238:239], s[28:29], v[252:253]
	s_delay_alu instid0(VALU_DEP_3) | instskip(SKIP_1) | instid1(VALU_DEP_3)
	v_add_f64_e32 v[196:197], v[98:99], v[50:51]
	v_mul_f64_e32 v[50:51], s[52:53], v[4:5]
	v_fma_f64 v[100:101], v[58:59], s[14:15], -v[238:239]
	v_fma_f64 v[236:237], v[58:59], s[14:15], v[238:239]
	s_delay_alu instid0(VALU_DEP_2) | instskip(NEXT) | instid1(VALU_DEP_4)
	v_add_f64_e32 v[198:199], v[100:101], v[96:97]
	v_fma_f64 v[96:97], v[244:245], s[16:17], -v[50:51]
	v_mul_f64_e32 v[100:101], s[52:53], v[6:7]
	v_fma_f64 v[50:51], v[244:245], s[16:17], v[50:51]
	v_add_f64_e32 v[94:95], v[236:237], v[94:95]
	s_delay_alu instid0(VALU_DEP_4) | instskip(NEXT) | instid1(VALU_DEP_4)
	v_add_f64_e32 v[96:97], v[96:97], v[110:111]
	v_fma_f64 v[98:99], v[248:249], s[16:17], v[100:101]
	s_delay_alu instid0(VALU_DEP_4)
	v_add_f64_e32 v[50:51], v[50:51], v[146:147]
	v_fma_f64 v[100:101], v[248:249], s[16:17], -v[100:101]
	v_mul_f64_e32 v[146:147], s[26:27], v[20:21]
	v_add_f64_e32 v[96:97], v[124:125], v[96:97]
	v_mul_f64_e32 v[124:125], s[34:35], v[18:19]
	v_add_f64_e32 v[98:99], v[98:99], v[108:109]
	v_add_f64_e32 v[100:101], v[100:101], v[144:145]
	;; [unrolled: 1-line block ×3, first 2 shown]
	v_mul_f64_e32 v[144:145], s[48:49], v[250:251]
	v_fma_f64 v[126:127], v[240:241], s[24:25], v[124:125]
	v_fma_f64 v[102:103], v[240:241], s[24:25], -v[124:125]
	s_delay_alu instid0(VALU_DEP_2) | instskip(SKIP_1) | instid1(VALU_DEP_3)
	v_add_f64_e32 v[98:99], v[126:127], v[98:99]
	v_mul_f64_e32 v[126:127], s[30:31], v[32:33]
	v_add_f64_e32 v[100:101], v[102:103], v[100:101]
	s_delay_alu instid0(VALU_DEP_2) | instskip(SKIP_1) | instid1(VALU_DEP_2)
	v_fma_f64 v[132:133], v[8:9], s[12:13], -v[126:127]
	v_fma_f64 v[102:103], v[8:9], s[12:13], v[126:127]
	v_add_f64_e32 v[96:97], v[132:133], v[96:97]
	v_mul_f64_e32 v[132:133], s[30:31], v[34:35]
	s_delay_alu instid0(VALU_DEP_3) | instskip(NEXT) | instid1(VALU_DEP_2)
	v_add_f64_e32 v[50:51], v[102:103], v[50:51]
	v_fma_f64 v[134:135], v[12:13], s[12:13], v[132:133]
	v_fma_f64 v[102:103], v[12:13], s[12:13], -v[132:133]
	v_mul_f64_e32 v[132:133], s[38:39], v[18:19]
	v_mul_f64_e32 v[18:19], s[30:31], v[18:19]
	s_delay_alu instid0(VALU_DEP_4) | instskip(SKIP_2) | instid1(VALU_DEP_2)
	v_add_f64_e32 v[98:99], v[134:135], v[98:99]
	v_mul_f64_e32 v[134:135], s[50:51], v[44:45]
	v_add_f64_e32 v[100:101], v[102:103], v[100:101]
	v_fma_f64 v[136:137], v[24:25], s[18:19], -v[134:135]
	v_fma_f64 v[102:103], v[24:25], s[18:19], v[134:135]
	v_mul_f64_e32 v[134:135], s[54:55], v[32:33]
	v_mul_f64_e32 v[32:33], s[48:49], v[32:33]
	s_delay_alu instid0(VALU_DEP_4) | instskip(SKIP_2) | instid1(VALU_DEP_2)
	v_add_f64_e32 v[96:97], v[136:137], v[96:97]
	v_mul_f64_e32 v[136:137], s[50:51], v[46:47]
	v_add_f64_e32 v[50:51], v[102:103], v[50:51]
	v_fma_f64 v[138:139], v[28:29], s[18:19], v[136:137]
	v_fma_f64 v[102:103], v[28:29], s[18:19], -v[136:137]
	v_mul_f64_e32 v[136:137], s[54:55], v[34:35]
	v_mul_f64_e32 v[34:35], s[48:49], v[34:35]
	s_delay_alu instid0(VALU_DEP_4) | instskip(SKIP_2) | instid1(VALU_DEP_2)
	v_add_f64_e32 v[98:99], v[138:139], v[98:99]
	v_mul_f64_e32 v[138:139], s[40:41], v[60:61]
	v_add_f64_e32 v[100:101], v[102:103], v[100:101]
	v_fma_f64 v[236:237], v[36:37], s[22:23], -v[138:139]
	v_fma_f64 v[102:103], v[36:37], s[22:23], v[138:139]
	v_mul_f64_e32 v[138:139], s[34:35], v[44:45]
	v_mul_f64_e32 v[44:45], s[28:29], v[44:45]
	s_delay_alu instid0(VALU_DEP_4) | instskip(SKIP_2) | instid1(VALU_DEP_2)
	v_add_f64_e32 v[96:97], v[236:237], v[96:97]
	v_mul_f64_e32 v[236:237], s[40:41], v[62:63]
	;; [unrolled: 16-line block ×3, first 2 shown]
	v_add_f64_e32 v[50:51], v[102:103], v[50:51]
	v_fma_f64 v[108:109], v[54:55], s[2:3], v[130:131]
	v_fma_f64 v[102:103], v[54:55], s[2:3], -v[130:131]
	v_mul_f64_e32 v[130:131], s[38:39], v[16:17]
	v_mul_f64_e32 v[16:17], s[30:31], v[16:17]
	s_delay_alu instid0(VALU_DEP_4) | instskip(SKIP_4) | instid1(VALU_DEP_4)
	v_add_f64_e32 v[98:99], v[108:109], v[98:99]
	v_mul_f64_e32 v[108:109], s[44:45], v[20:21]
	v_add_f64_e32 v[102:103], v[102:103], v[100:101]
	v_fma_f64 v[124:125], v[0:1], s[18:19], -v[130:131]
	v_mul_f64_e32 v[20:21], s[50:51], v[20:21]
	v_fma_f64 v[110:111], v[64:65], s[20:21], -v[108:109]
	v_fma_f64 v[100:101], v[64:65], s[20:21], v[108:109]
	s_delay_alu instid0(VALU_DEP_2) | instskip(SKIP_1) | instid1(VALU_DEP_3)
	v_add_f64_e32 v[96:97], v[110:111], v[96:97]
	v_mul_f64_e32 v[110:111], s[44:45], v[252:253]
	v_add_f64_e32 v[100:101], v[100:101], v[50:51]
	v_mul_f64_e32 v[50:51], s[44:45], v[4:5]
	s_delay_alu instid0(VALU_DEP_3) | instskip(SKIP_2) | instid1(VALU_DEP_3)
	v_fma_f64 v[108:109], v[58:59], s[20:21], -v[110:111]
	v_fma_f64 v[116:117], v[58:59], s[20:21], v[110:111]
	v_mul_f64_e32 v[110:111], s[44:45], v[6:7]
	v_add_f64_e32 v[102:103], v[108:109], v[102:103]
	v_fma_f64 v[108:109], v[244:245], s[20:21], -v[50:51]
	s_delay_alu instid0(VALU_DEP_4) | instskip(NEXT) | instid1(VALU_DEP_4)
	v_add_f64_e32 v[98:99], v[116:117], v[98:99]
	v_fma_f64 v[116:117], v[248:249], s[20:21], v[110:111]
	v_fma_f64 v[50:51], v[244:245], s[20:21], v[50:51]
	v_fma_f64 v[110:111], v[248:249], s[20:21], -v[110:111]
	v_add_f64_e32 v[108:109], v[108:109], v[142:143]
	v_mul_f64_e32 v[142:143], s[48:49], v[128:129]
	v_add_f64_e32 v[116:117], v[116:117], v[140:141]
	v_mul_f64_e32 v[140:141], s[36:37], v[62:63]
	v_mul_f64_e32 v[62:63], s[44:45], v[62:63]
	v_add_f64_e32 v[108:109], v[124:125], v[108:109]
	v_fma_f64 v[124:125], v[240:241], s[18:19], v[132:133]
	s_delay_alu instid0(VALU_DEP_1) | instskip(SKIP_1) | instid1(VALU_DEP_1)
	v_add_f64_e32 v[116:117], v[124:125], v[116:117]
	v_fma_f64 v[124:125], v[8:9], s[14:15], -v[134:135]
	v_add_f64_e32 v[108:109], v[124:125], v[108:109]
	v_fma_f64 v[124:125], v[12:13], s[14:15], v[136:137]
	s_delay_alu instid0(VALU_DEP_1) | instskip(SKIP_1) | instid1(VALU_DEP_1)
	v_add_f64_e32 v[116:117], v[124:125], v[116:117]
	v_fma_f64 v[124:125], v[24:25], s[24:25], -v[138:139]
	;; [unrolled: 5-line block ×5, first 2 shown]
	v_add_f64_e32 v[124:125], v[124:125], v[108:109]
	v_mul_f64_e32 v[108:109], s[26:27], v[252:253]
	s_delay_alu instid0(VALU_DEP_1) | instskip(SKIP_1) | instid1(VALU_DEP_2)
	v_fma_f64 v[126:127], v[58:59], s[16:17], v[108:109]
	v_fma_f64 v[108:109], v[58:59], s[16:17], -v[108:109]
	v_add_f64_e32 v[126:127], v[126:127], v[116:117]
	scratch_load_b64 v[116:117], off, off offset:472 th:TH_LOAD_LU ; 8-byte Folded Reload
	s_wait_loadcnt 0x0
	v_add_f64_e32 v[50:51], v[50:51], v[116:117]
	scratch_load_b64 v[116:117], off, off offset:464 th:TH_LOAD_LU ; 8-byte Folded Reload
	s_wait_loadcnt 0x0
	v_add_f64_e32 v[110:111], v[110:111], v[116:117]
	v_fma_f64 v[116:117], v[0:1], s[18:19], v[130:131]
	v_fma_f64 v[130:131], v[64:65], s[18:19], -v[20:21]
	v_fma_f64 v[20:21], v[64:65], s[18:19], v[20:21]
	s_delay_alu instid0(VALU_DEP_3) | instskip(SKIP_1) | instid1(VALU_DEP_1)
	v_add_f64_e32 v[50:51], v[116:117], v[50:51]
	v_fma_f64 v[116:117], v[240:241], s[18:19], -v[132:133]
	v_add_f64_e32 v[110:111], v[116:117], v[110:111]
	v_fma_f64 v[116:117], v[8:9], s[14:15], v[134:135]
	s_delay_alu instid0(VALU_DEP_1) | instskip(SKIP_1) | instid1(VALU_DEP_1)
	v_add_f64_e32 v[50:51], v[116:117], v[50:51]
	v_fma_f64 v[116:117], v[12:13], s[14:15], -v[136:137]
	v_add_f64_e32 v[110:111], v[116:117], v[110:111]
	v_fma_f64 v[116:117], v[24:25], s[24:25], v[138:139]
	s_delay_alu instid0(VALU_DEP_1) | instskip(SKIP_1) | instid1(VALU_DEP_1)
	;; [unrolled: 5-line block ×4, first 2 shown]
	v_add_f64_e32 v[50:51], v[116:117], v[50:51]
	v_fma_f64 v[116:117], v[54:55], s[22:23], -v[144:145]
	v_add_f64_e32 v[110:111], v[116:117], v[110:111]
	v_fma_f64 v[116:117], v[64:65], s[16:17], v[146:147]
	s_delay_alu instid0(VALU_DEP_2)
	v_add_f64_e32 v[134:135], v[108:109], v[110:111]
	s_clause 0x1
	scratch_load_b64 v[108:109], off, off offset:456 th:TH_LOAD_LU
	scratch_load_b64 v[110:111], off, off offset:448 th:TH_LOAD_LU
	v_add_f64_e32 v[132:133], v[116:117], v[50:51]
	v_mul_f64_e32 v[50:51], s[46:47], v[4:5]
	s_delay_alu instid0(VALU_DEP_1) | instskip(SKIP_2) | instid1(VALU_DEP_2)
	v_fma_f64 v[4:5], v[244:245], s[24:25], -v[50:51]
	v_fma_f64 v[50:51], v[244:245], s[24:25], v[50:51]
	s_wait_loadcnt 0x1
	v_add_f64_e32 v[4:5], v[4:5], v[108:109]
	v_mul_f64_e32 v[108:109], s[46:47], v[6:7]
	s_delay_alu instid0(VALU_DEP_1) | instskip(SKIP_2) | instid1(VALU_DEP_2)
	v_fma_f64 v[6:7], v[248:249], s[24:25], v[108:109]
	v_fma_f64 v[108:109], v[248:249], s[24:25], -v[108:109]
	s_wait_loadcnt 0x0
	v_add_f64_e32 v[6:7], v[6:7], v[110:111]
	v_fma_f64 v[110:111], v[0:1], s[12:13], -v[16:17]
	v_fma_f64 v[16:17], v[0:1], s[12:13], v[16:17]
	v_fma_f64 v[0:1], v[0:1], s[20:21], v[254:255]
	s_delay_alu instid0(VALU_DEP_3) | instskip(SKIP_2) | instid1(VALU_DEP_2)
	v_add_f64_e32 v[4:5], v[110:111], v[4:5]
	v_fma_f64 v[110:111], v[240:241], s[12:13], v[18:19]
	v_fma_f64 v[18:19], v[240:241], s[12:13], -v[18:19]
	v_add_f64_e32 v[6:7], v[110:111], v[6:7]
	v_fma_f64 v[110:111], v[8:9], s[22:23], -v[32:33]
	v_fma_f64 v[32:33], v[8:9], s[22:23], v[32:33]
	v_fma_f64 v[8:9], v[8:9], s[18:19], v[10:11]
	v_fma_f64 v[10:11], v[12:13], s[18:19], -v[14:15]
	v_fma_f64 v[14:15], v[24:25], s[16:17], v[26:27]
	v_add_f64_e32 v[4:5], v[110:111], v[4:5]
	v_fma_f64 v[110:111], v[12:13], s[22:23], v[34:35]
	s_delay_alu instid0(VALU_DEP_1) | instskip(SKIP_1) | instid1(VALU_DEP_1)
	v_add_f64_e32 v[6:7], v[110:111], v[6:7]
	v_fma_f64 v[110:111], v[24:25], s[14:15], -v[44:45]
	v_add_f64_e32 v[4:5], v[110:111], v[4:5]
	v_fma_f64 v[110:111], v[28:29], s[14:15], v[46:47]
	s_delay_alu instid0(VALU_DEP_1) | instskip(SKIP_1) | instid1(VALU_DEP_1)
	v_add_f64_e32 v[6:7], v[110:111], v[6:7]
	v_fma_f64 v[110:111], v[36:37], s[20:21], -v[60:61]
	v_add_f64_e32 v[4:5], v[110:111], v[4:5]
	v_fma_f64 v[110:111], v[40:41], s[20:21], v[62:63]
	s_delay_alu instid0(VALU_DEP_1) | instskip(SKIP_1) | instid1(VALU_DEP_1)
	v_add_f64_e32 v[6:7], v[110:111], v[6:7]
	v_mul_f64_e32 v[110:111], s[26:27], v[128:129]
	v_fma_f64 v[116:117], v[48:49], s[16:17], -v[110:111]
	s_delay_alu instid0(VALU_DEP_1) | instskip(SKIP_1) | instid1(VALU_DEP_2)
	v_add_f64_e32 v[4:5], v[116:117], v[4:5]
	v_mul_f64_e32 v[116:117], s[26:27], v[250:251]
	v_add_f64_e32 v[4:5], v[130:131], v[4:5]
	s_delay_alu instid0(VALU_DEP_2) | instskip(NEXT) | instid1(VALU_DEP_1)
	v_fma_f64 v[128:129], v[54:55], s[16:17], v[116:117]
	v_add_f64_e32 v[6:7], v[128:129], v[6:7]
	v_mul_f64_e32 v[128:129], s[50:51], v[252:253]
	s_delay_alu instid0(VALU_DEP_1) | instskip(NEXT) | instid1(VALU_DEP_1)
	v_fma_f64 v[130:131], v[58:59], s[18:19], v[128:129]
	v_add_f64_e32 v[6:7], v[130:131], v[6:7]
	scratch_load_b64 v[130:131], off, off offset:432 th:TH_LOAD_LU ; 8-byte Folded Reload
	s_wait_loadcnt 0x0
	v_add_f64_e32 v[50:51], v[50:51], v[130:131]
	scratch_load_b64 v[130:131], off, off offset:440 th:TH_LOAD_LU ; 8-byte Folded Reload
	v_add_f64_e32 v[16:17], v[16:17], v[50:51]
	s_delay_alu instid0(VALU_DEP_1) | instskip(SKIP_3) | instid1(VALU_DEP_1)
	v_add_f64_e32 v[16:17], v[32:33], v[16:17]
	v_fma_f64 v[32:33], v[12:13], s[22:23], -v[34:35]
	s_wait_loadcnt 0x0
	v_add_f64_e32 v[108:109], v[108:109], v[130:131]
	v_add_f64_e32 v[18:19], v[18:19], v[108:109]
	s_delay_alu instid0(VALU_DEP_1) | instskip(SKIP_3) | instid1(VALU_DEP_3)
	v_add_f64_e32 v[18:19], v[32:33], v[18:19]
	v_fma_f64 v[32:33], v[24:25], s[14:15], v[44:45]
	v_fma_f64 v[44:45], v[240:241], s[20:21], -v[242:243]
	v_fma_f64 v[24:25], v[28:29], s[16:17], -v[30:31]
	v_add_f64_e32 v[16:17], v[32:33], v[16:17]
	v_fma_f64 v[32:33], v[28:29], s[14:15], -v[46:47]
	s_delay_alu instid0(VALU_DEP_1) | instskip(SKIP_1) | instid1(VALU_DEP_1)
	v_add_f64_e32 v[18:19], v[32:33], v[18:19]
	v_fma_f64 v[32:33], v[36:37], s[20:21], v[60:61]
	v_add_f64_e32 v[16:17], v[32:33], v[16:17]
	v_fma_f64 v[32:33], v[40:41], s[20:21], -v[62:63]
	s_delay_alu instid0(VALU_DEP_1) | instskip(SKIP_1) | instid1(VALU_DEP_1)
	v_add_f64_e32 v[18:19], v[32:33], v[18:19]
	v_fma_f64 v[32:33], v[48:49], s[16:17], v[110:111]
	v_add_f64_e32 v[16:17], v[32:33], v[16:17]
	v_fma_f64 v[32:33], v[54:55], s[16:17], -v[116:117]
	s_delay_alu instid0(VALU_DEP_2) | instskip(NEXT) | instid1(VALU_DEP_2)
	v_add_f64_e32 v[16:17], v[20:21], v[16:17]
	v_add_f64_e32 v[18:19], v[32:33], v[18:19]
	v_fma_f64 v[32:33], v[58:59], s[18:19], -v[128:129]
	s_delay_alu instid0(VALU_DEP_1)
	v_add_f64_e32 v[18:19], v[32:33], v[18:19]
	s_clause 0x1
	scratch_load_b64 v[20:21], off, off offset:384 th:TH_LOAD_LU
	scratch_load_b64 v[32:33], off, off offset:416 th:TH_LOAD_LU
	s_wait_loadcnt 0x0
	v_add_f64_e32 v[20:21], v[20:21], v[32:33]
	s_clause 0x2
	scratch_load_b64 v[32:33], off, off offset:392 th:TH_LOAD_LU
	scratch_load_b64 v[34:35], off, off offset:424 th:TH_LOAD_LU
	;; [unrolled: 1-line block ×3, first 2 shown]
	s_wait_loadcnt 0x1
	v_add_f64_e32 v[32:33], v[32:33], v[34:35]
	scratch_load_b64 v[34:35], off, off offset:480 th:TH_LOAD_LU ; 8-byte Folded Reload
	s_wait_loadcnt 0x0
	v_add_f64_e32 v[20:21], v[20:21], v[34:35]
	scratch_load_b64 v[34:35], off, off offset:488 th:TH_LOAD_LU ; 8-byte Folded Reload
	;; [unrolled: 3-line block ×3, first 2 shown]
	v_add_f64_e32 v[32:33], v[32:33], v[118:119]
	s_delay_alu instid0(VALU_DEP_1) | instskip(NEXT) | instid1(VALU_DEP_1)
	v_add_f64_e32 v[32:33], v[32:33], v[122:123]
	v_add_f64_e32 v[32:33], v[32:33], v[104:105]
	s_delay_alu instid0(VALU_DEP_1) | instskip(SKIP_4) | instid1(VALU_DEP_1)
	v_add_f64_e32 v[32:33], v[32:33], v[178:179]
	s_wait_loadcnt 0x0
	v_add_f64_e32 v[20:21], v[20:21], v[34:35]
	scratch_load_b64 v[34:35], off, off offset:408 th:TH_LOAD_LU ; 8-byte Folded Reload
	v_add_f64_e32 v[20:21], v[20:21], v[120:121]
	v_add_f64_e32 v[20:21], v[20:21], v[106:107]
	s_delay_alu instid0(VALU_DEP_1) | instskip(NEXT) | instid1(VALU_DEP_1)
	v_add_f64_e32 v[20:21], v[20:21], v[176:177]
	v_add_f64_e32 v[20:21], v[20:21], v[22:23]
	;; [unrolled: 1-line block ×3, first 2 shown]
	scratch_load_b64 v[32:33], off, off offset:400 th:TH_LOAD_LU ; 8-byte Folded Reload
	v_add_f64_e32 v[20:21], v[20:21], v[204:205]
	v_add_f64_e32 v[22:23], v[22:23], v[206:207]
	s_delay_alu instid0(VALU_DEP_2) | instskip(NEXT) | instid1(VALU_DEP_2)
	v_add_f64_e32 v[20:21], v[20:21], v[208:209]
	v_add_f64_e32 v[22:23], v[22:23], v[210:211]
                                        ; implicit-def: $vgpr208_vgpr209
	s_delay_alu instid0(VALU_DEP_2) | instskip(NEXT) | instid1(VALU_DEP_2)
	v_add_f64_e32 v[20:21], v[20:21], v[212:213]
	v_add_f64_e32 v[22:23], v[22:23], v[214:215]
	s_delay_alu instid0(VALU_DEP_2) | instskip(NEXT) | instid1(VALU_DEP_2)
	v_add_f64_e32 v[20:21], v[20:21], v[216:217]
	v_add_f64_e32 v[22:23], v[22:23], v[218:219]
	;; [unrolled: 3-line block ×6, first 2 shown]
	s_wait_loadcnt 0x0
	v_fma_f64 v[32:33], v[244:245], s[22:23], v[32:33]
	s_delay_alu instid0(VALU_DEP_1) | instskip(SKIP_3) | instid1(VALU_DEP_1)
	v_add_f64_e32 v[32:33], v[32:33], v[46:47]
	scratch_load_b64 v[46:47], off, off offset:376 th:TH_LOAD_LU ; 8-byte Folded Reload
	v_fma_f64 v[34:35], v[248:249], s[22:23], -v[34:35]
	v_add_f64_e32 v[0:1], v[0:1], v[32:33]
	v_add_f64_e32 v[0:1], v[8:9], v[0:1]
	s_delay_alu instid0(VALU_DEP_1) | instskip(SKIP_3) | instid1(VALU_DEP_1)
	v_add_f64_e32 v[0:1], v[14:15], v[0:1]
	v_fma_f64 v[14:15], v[48:49], s[12:13], v[52:53]
	s_wait_loadcnt 0x0
	v_add_f64_e32 v[34:35], v[34:35], v[46:47]
	v_add_f64_e32 v[12:13], v[44:45], v[34:35]
	s_delay_alu instid0(VALU_DEP_1) | instskip(SKIP_2) | instid1(VALU_DEP_3)
	v_add_f64_e32 v[8:9], v[10:11], v[12:13]
	v_fma_f64 v[10:11], v[36:37], s[14:15], v[38:39]
	v_fma_f64 v[12:13], v[40:41], s[14:15], -v[42:43]
	v_add_f64_e32 v[8:9], v[24:25], v[8:9]
	s_delay_alu instid0(VALU_DEP_3) | instskip(SKIP_3) | instid1(VALU_DEP_4)
	v_add_f64_e32 v[0:1], v[10:11], v[0:1]
	v_fma_f64 v[10:11], v[64:65], s[2:3], v[66:67]
	v_fma_f64 v[24:25], v[54:55], s[12:13], -v[56:57]
	s_load_b64 s[2:3], s[0:1], 0x38
	v_add_f64_e32 v[8:9], v[12:13], v[8:9]
	s_delay_alu instid0(VALU_DEP_4) | instskip(NEXT) | instid1(VALU_DEP_2)
	v_add_f64_e32 v[0:1], v[14:15], v[0:1]
	v_add_f64_e32 v[8:9], v[24:25], v[8:9]
	s_delay_alu instid0(VALU_DEP_2)
	v_add_f64_e32 v[176:177], v[10:11], v[0:1]
	scratch_load_b32 v0, off, off offset:364 th:TH_LOAD_LU ; 4-byte Folded Reload
	global_wb scope:SCOPE_SE
	s_wait_loadcnt 0x0
	s_wait_storecnt 0x0
	s_wait_kmcnt 0x0
	s_barrier_signal -1
	s_barrier_wait -1
	global_inv scope:SCOPE_SE
	v_add_f64_e32 v[178:179], v[2:3], v[8:9]
	v_and_b32_e32 v0, 0xffff, v0
	s_delay_alu instid0(VALU_DEP_1) | instskip(NEXT) | instid1(VALU_DEP_1)
	v_mul_u32_u24_e32 v0, 0x121, v0
	v_add_lshl_u32 v56, v0, v201, 4
	ds_store_b128 v56, v[68:71] offset:272
	ds_store_b128 v56, v[76:79] offset:544
	;; [unrolled: 1-line block ×11, first 2 shown]
	ds_store_b128 v56, v[20:23]
	ds_store_b128 v56, v[196:199] offset:3264
	ds_store_b128 v56, v[80:83] offset:3536
	;; [unrolled: 1-line block ×5, first 2 shown]
	global_wb scope:SCOPE_SE
	s_wait_dscnt 0x0
	s_barrier_signal -1
	s_barrier_wait -1
	global_inv scope:SCOPE_SE
	ds_load_b128 v[204:207], v246
	ds_load_b128 v[92:95], v246 offset:4624
	ds_load_b128 v[120:123], v246 offset:9248
	;; [unrolled: 1-line block ×11, first 2 shown]
	v_add_co_u32 v0, s0, s8, v246
	s_wait_alu 0xf1ff
	v_add_co_ci_u32_e64 v1, null, s9, 0, s0
	s_and_saveexec_b32 s0, vcc_lo
	s_cbranch_execz .LBB0_3
; %bb.2:
	ds_load_b128 v[196:199], v246 offset:3264
	ds_load_b128 v[80:83], v246 offset:7888
	;; [unrolled: 1-line block ×6, first 2 shown]
.LBB0_3:
	s_wait_alu 0xfffe
	s_or_b32 exec_lo, exec_lo, s0
	scratch_load_b32 v242, off, off offset:8 ; 4-byte Folded Reload
	s_wait_loadcnt 0x0
	v_mad_co_u64_u32 v[2:3], null, 0x50, v242, s[10:11]
	s_clause 0x1
	global_load_b128 v[88:91], v[2:3], off offset:4384
	global_load_b128 v[24:27], v[2:3], off offset:12560
	s_wait_loadcnt_dscnt 0x108
	v_mul_f64_e32 v[4:5], v[110:111], v[90:91]
	s_delay_alu instid0(VALU_DEP_1) | instskip(SKIP_1) | instid1(VALU_DEP_1)
	v_fma_f64 v[18:19], v[108:109], v[88:89], -v[4:5]
	v_mul_f64_e32 v[4:5], v[108:109], v[90:91]
	v_fma_f64 v[20:21], v[110:111], v[88:89], v[4:5]
	global_load_b128 v[108:111], v[2:3], off offset:4416
	s_wait_loadcnt_dscnt 0x6
	v_mul_f64_e32 v[4:5], v[100:101], v[110:111]
	s_delay_alu instid0(VALU_DEP_1) | instskip(SKIP_1) | instid1(VALU_DEP_1)
	v_fma_f64 v[22:23], v[102:103], v[108:109], v[4:5]
	v_mul_f64_e32 v[4:5], v[102:103], v[110:111]
	v_fma_f64 v[44:45], v[100:101], v[108:109], -v[4:5]
	global_load_b128 v[100:103], v[2:3], off offset:12544
	s_wait_loadcnt_dscnt 0x2
	v_mul_f64_e32 v[4:5], v[106:107], v[102:103]
	s_delay_alu instid0(VALU_DEP_1) | instskip(SKIP_1) | instid1(VALU_DEP_1)
	v_fma_f64 v[61:62], v[104:105], v[100:101], -v[4:5]
	v_mul_f64_e32 v[4:5], v[104:105], v[102:103]
	v_fma_f64 v[63:64], v[106:107], v[100:101], v[4:5]
	global_load_b128 v[104:107], v[2:3], off offset:12576
	s_wait_loadcnt_dscnt 0x0
	v_mul_f64_e32 v[4:5], v[84:85], v[106:107]
	s_delay_alu instid0(VALU_DEP_1) | instskip(SKIP_1) | instid1(VALU_DEP_1)
	v_fma_f64 v[65:66], v[86:87], v[104:105], v[4:5]
	v_mul_f64_e32 v[4:5], v[86:87], v[106:107]
	v_fma_f64 v[124:125], v[84:85], v[104:105], -v[4:5]
	global_load_b128 v[84:87], v[2:3], off offset:4352
	s_wait_loadcnt 0x0
	v_mul_f64_e32 v[4:5], v[94:95], v[86:87]
	s_delay_alu instid0(VALU_DEP_1) | instskip(SKIP_1) | instid1(VALU_DEP_1)
	v_fma_f64 v[46:47], v[92:93], v[84:85], -v[4:5]
	v_mul_f64_e32 v[4:5], v[92:93], v[86:87]
	v_fma_f64 v[48:49], v[94:95], v[84:85], v[4:5]
	global_load_b128 v[92:95], v[2:3], off offset:12512
	s_wait_loadcnt 0x0
	v_mul_f64_e32 v[4:5], v[98:99], v[94:95]
	s_delay_alu instid0(VALU_DEP_1) | instskip(SKIP_1) | instid1(VALU_DEP_1)
	v_fma_f64 v[126:127], v[96:97], v[92:93], -v[4:5]
	v_mul_f64_e32 v[4:5], v[96:97], v[94:95]
	v_fma_f64 v[128:129], v[98:99], v[92:93], v[4:5]
	;; [unrolled: 7-line block ×3, first 2 shown]
	global_load_b128 v[120:123], v[2:3], off offset:4400
	v_add_f64_e32 v[30:31], v[206:207], v[52:53]
	s_wait_loadcnt 0x0
	v_mul_f64_e32 v[4:5], v[118:119], v[122:123]
	s_delay_alu instid0(VALU_DEP_1) | instskip(SKIP_1) | instid1(VALU_DEP_2)
	v_fma_f64 v[54:55], v[116:117], v[120:121], -v[4:5]
	v_mul_f64_e32 v[4:5], v[116:117], v[122:123]
	v_add_f64_e32 v[28:29], v[50:51], v[54:55]
	s_delay_alu instid0(VALU_DEP_2)
	v_fma_f64 v[57:58], v[118:119], v[120:121], v[4:5]
	global_load_b128 v[116:119], v[2:3], off offset:12528
	v_mul_f64_e32 v[2:3], v[70:71], v[26:27]
	v_fma_f64 v[59:60], v[28:29], -0.5, v[204:205]
	v_add_f64_e32 v[28:29], v[52:53], v[57:58]
	v_add_f64_e32 v[34:35], v[30:31], v[57:58]
	s_delay_alu instid0(VALU_DEP_4) | instskip(SKIP_1) | instid1(VALU_DEP_1)
	v_fma_f64 v[134:135], v[68:69], v[24:25], -v[2:3]
	v_mul_f64_e32 v[2:3], v[68:69], v[26:27]
	v_fma_f64 v[136:137], v[70:71], v[24:25], v[2:3]
	v_add_nc_u32_e32 v2, 0xcc, v242
	v_add_nc_u32_e32 v3, 0xffffffab, v242
	s_delay_alu instid0(VALU_DEP_1) | instskip(NEXT) | instid1(VALU_DEP_1)
	v_cndmask_b32_e32 v2, v3, v2, vcc_lo
	v_mul_i32_i24_e32 v3, 0x50, v2
	v_mul_hi_i32_i24_e32 v2, 0x50, v2
	s_delay_alu instid0(VALU_DEP_2) | instskip(SKIP_1) | instid1(VALU_DEP_2)
	v_add_co_u32 v138, s0, s10, v3
	s_wait_alu 0xf1ff
	v_add_co_ci_u32_e64 v139, s0, s11, v2, s0
	s_mov_b32 s0, 0xe8584caa
	s_mov_b32 s1, 0x3febb67a
	;; [unrolled: 1-line block ×3, first 2 shown]
	global_load_b128 v[68:71], v[138:139], off offset:4384
	s_wait_alu 0xfffe
	s_mov_b32 s10, s0
	s_wait_loadcnt 0x1
	v_mul_f64_e32 v[4:5], v[78:79], v[118:119]
	s_delay_alu instid0(VALU_DEP_1) | instskip(SKIP_1) | instid1(VALU_DEP_1)
	v_fma_f64 v[130:131], v[76:77], v[116:117], -v[4:5]
	v_mul_f64_e32 v[4:5], v[76:77], v[118:119]
	v_fma_f64 v[132:133], v[78:79], v[116:117], v[4:5]
	global_load_b128 v[76:79], v[138:139], off offset:4416
	s_wait_loadcnt 0x1
	v_mul_f64_e32 v[2:3], v[74:75], v[70:71]
	s_delay_alu instid0(VALU_DEP_1) | instskip(SKIP_1) | instid1(VALU_DEP_1)
	v_fma_f64 v[4:5], v[72:73], v[68:69], -v[2:3]
	v_mul_f64_e32 v[2:3], v[72:73], v[70:71]
	v_fma_f64 v[10:11], v[74:75], v[68:69], v[2:3]
	global_load_b128 v[72:75], v[138:139], off offset:4352
	s_wait_loadcnt 0x1
	v_mul_f64_e32 v[2:3], v[210:211], v[78:79]
	v_mul_f64_e32 v[6:7], v[208:209], v[78:79]
	s_delay_alu instid0(VALU_DEP_2) | instskip(NEXT) | instid1(VALU_DEP_2)
	v_fma_f64 v[2:3], v[208:209], v[76:77], -v[2:3]
	v_fma_f64 v[6:7], v[210:211], v[76:77], v[6:7]
	s_wait_loadcnt 0x0
	v_mul_f64_e32 v[8:9], v[82:83], v[74:75]
	v_mul_f64_e32 v[12:13], v[80:81], v[74:75]
	s_delay_alu instid0(VALU_DEP_2) | instskip(NEXT) | instid1(VALU_DEP_2)
	v_fma_f64 v[8:9], v[80:81], v[72:73], -v[8:9]
	v_fma_f64 v[14:15], v[82:83], v[72:73], v[12:13]
	global_load_b128 v[80:83], v[138:139], off offset:4368
	s_wait_loadcnt 0x0
	v_mul_f64_e32 v[12:13], v[114:115], v[82:83]
	v_mul_f64_e32 v[16:17], v[112:113], v[82:83]
	s_delay_alu instid0(VALU_DEP_2) | instskip(SKIP_2) | instid1(VALU_DEP_4)
	v_fma_f64 v[12:13], v[112:113], v[80:81], -v[12:13]
	v_fma_f64 v[112:113], v[28:29], -0.5, v[206:207]
	v_add_f64_e32 v[28:29], v[204:205], v[50:51]
	v_fma_f64 v[16:17], v[114:115], v[80:81], v[16:17]
	s_delay_alu instid0(VALU_DEP_2) | instskip(SKIP_1) | instid1(VALU_DEP_1)
	v_add_f64_e32 v[32:33], v[28:29], v[54:55]
	v_add_f64_e32 v[28:29], v[46:47], v[18:19]
	;; [unrolled: 1-line block ×4, first 2 shown]
	s_delay_alu instid0(VALU_DEP_1) | instskip(NEXT) | instid1(VALU_DEP_3)
	v_add_f64_e32 v[38:39], v[28:29], v[22:23]
	v_add_f64_e32 v[28:29], v[32:33], v[36:37]
	v_add_f64_e64 v[32:33], v[32:33], -v[36:37]
	v_add_f64_e32 v[36:37], v[130:131], v[134:135]
	s_delay_alu instid0(VALU_DEP_4) | instskip(SKIP_2) | instid1(VALU_DEP_4)
	v_add_f64_e32 v[30:31], v[34:35], v[38:39]
	v_add_f64_e64 v[34:35], v[34:35], -v[38:39]
	v_add_f64_e32 v[38:39], v[202:203], v[132:133]
	v_fma_f64 v[114:115], v[36:37], -0.5, v[200:201]
	v_add_f64_e32 v[36:37], v[132:133], v[136:137]
	s_delay_alu instid0(VALU_DEP_3) | instskip(NEXT) | instid1(VALU_DEP_2)
	v_add_f64_e32 v[42:43], v[38:39], v[136:137]
	v_fma_f64 v[140:141], v[36:37], -0.5, v[202:203]
	v_add_f64_e32 v[36:37], v[200:201], v[130:131]
	s_delay_alu instid0(VALU_DEP_1) | instskip(SKIP_1) | instid1(VALU_DEP_1)
	v_add_f64_e32 v[40:41], v[36:37], v[134:135]
	v_add_f64_e32 v[36:37], v[126:127], v[61:62]
	;; [unrolled: 1-line block ×4, first 2 shown]
	s_delay_alu instid0(VALU_DEP_1) | instskip(NEXT) | instid1(VALU_DEP_3)
	v_add_f64_e32 v[144:145], v[36:37], v[65:66]
	v_add_f64_e32 v[36:37], v[40:41], v[142:143]
	v_add_f64_e64 v[40:41], v[40:41], -v[142:143]
	v_add_f64_e32 v[142:143], v[18:19], v[44:45]
	v_add_f64_e64 v[18:19], v[18:19], -v[44:45]
	;; [unrolled: 2-line block ×3, first 2 shown]
	v_add_f64_e64 v[22:23], v[52:53], -v[57:58]
	v_add_f64_e64 v[52:53], v[50:51], -v[54:55]
	v_add_f64_e32 v[38:39], v[42:43], v[144:145]
	v_add_f64_e64 v[42:43], v[42:43], -v[144:145]
	v_fma_f64 v[54:55], v[142:143], -0.5, v[46:47]
	v_fma_f64 v[144:145], v[44:45], -0.5, v[48:49]
	v_fma_f64 v[57:58], v[22:23], s[0:1], v[59:60]
	s_wait_alu 0xfffe
	v_fma_f64 v[142:143], v[52:53], s[10:11], v[112:113]
	v_fma_f64 v[22:23], v[22:23], s[10:11], v[59:60]
	;; [unrolled: 1-line block ×3, first 2 shown]
	v_add_f64_e64 v[112:113], v[132:133], -v[136:137]
	v_fma_f64 v[46:47], v[20:21], s[0:1], v[54:55]
	v_fma_f64 v[20:21], v[20:21], s[10:11], v[54:55]
	v_fma_f64 v[44:45], v[18:19], s[10:11], v[144:145]
	v_fma_f64 v[18:19], v[18:19], s[0:1], v[144:145]
	s_delay_alu instid0(VALU_DEP_3) | instskip(NEXT) | instid1(VALU_DEP_3)
	v_mul_f64_e32 v[52:53], -0.5, v[20:21]
	v_mul_f64_e32 v[48:49], s[0:1], v[44:45]
	s_delay_alu instid0(VALU_DEP_1) | instskip(SKIP_1) | instid1(VALU_DEP_1)
	v_fma_f64 v[48:49], v[46:47], 0.5, v[48:49]
	v_mul_f64_e32 v[46:47], s[10:11], v[46:47]
	v_fma_f64 v[50:51], v[44:45], 0.5, v[46:47]
	s_delay_alu instid0(VALU_DEP_3)
	v_add_f64_e32 v[44:45], v[57:58], v[48:49]
	v_add_f64_e64 v[48:49], v[57:58], -v[48:49]
	v_fma_f64 v[57:58], v[18:19], s[0:1], v[52:53]
	v_mul_f64_e32 v[18:19], -0.5, v[18:19]
	v_add_f64_e32 v[46:47], v[142:143], v[50:51]
	v_add_f64_e64 v[50:51], v[142:143], -v[50:51]
	s_delay_alu instid0(VALU_DEP_4) | instskip(NEXT) | instid1(VALU_DEP_4)
	v_add_f64_e32 v[52:53], v[22:23], v[57:58]
	v_fma_f64 v[18:19], v[20:21], s[10:11], v[18:19]
	v_add_f64_e64 v[57:58], v[22:23], -v[57:58]
	v_add_f64_e32 v[22:23], v[63:64], v[65:66]
	v_add_f64_e64 v[20:21], v[61:62], -v[124:125]
	v_add_f64_e64 v[65:66], v[63:64], -v[65:66]
	v_add_f64_e32 v[54:55], v[59:60], v[18:19]
	v_add_f64_e64 v[59:60], v[59:60], -v[18:19]
	v_add_f64_e32 v[18:19], v[61:62], v[124:125]
	v_fma_f64 v[22:23], v[22:23], -0.5, v[128:129]
	v_add_f64_e64 v[128:129], v[130:131], -v[134:135]
	v_fma_f64 v[130:131], v[112:113], s[0:1], v[114:115]
	s_delay_alu instid0(VALU_DEP_4) | instskip(NEXT) | instid1(VALU_DEP_4)
	v_fma_f64 v[18:19], v[18:19], -0.5, v[126:127]
	v_fma_f64 v[61:62], v[20:21], s[10:11], v[22:23]
	v_fma_f64 v[20:21], v[20:21], s[0:1], v[22:23]
	v_fma_f64 v[22:23], v[112:113], s[10:11], v[114:115]
	v_fma_f64 v[132:133], v[128:129], s[10:11], v[140:141]
	v_fma_f64 v[63:64], v[65:66], s[0:1], v[18:19]
	v_mul_f64_e32 v[124:125], s[0:1], v[61:62]
	v_fma_f64 v[18:19], v[65:66], s[10:11], v[18:19]
	v_fma_f64 v[65:66], v[128:129], s[0:1], v[140:141]
	s_delay_alu instid0(VALU_DEP_3) | instskip(SKIP_1) | instid1(VALU_DEP_4)
	v_fma_f64 v[124:125], v[63:64], 0.5, v[124:125]
	v_mul_f64_e32 v[63:64], s[10:11], v[63:64]
	v_mul_f64_e32 v[112:113], -0.5, v[18:19]
	s_delay_alu instid0(VALU_DEP_2) | instskip(NEXT) | instid1(VALU_DEP_2)
	v_fma_f64 v[126:127], v[61:62], 0.5, v[63:64]
	v_fma_f64 v[112:113], v[20:21], s[0:1], v[112:113]
	v_mul_f64_e32 v[20:21], -0.5, v[20:21]
	v_add_f64_e32 v[61:62], v[130:131], v[124:125]
	v_add_f64_e64 v[124:125], v[130:131], -v[124:125]
	v_add_f64_e32 v[63:64], v[132:133], v[126:127]
	v_add_f64_e64 v[126:127], v[132:133], -v[126:127]
	;; [unrolled: 2-line block ×3, first 2 shown]
	global_load_b128 v[112:115], v[138:139], off offset:4400
	v_fma_f64 v[18:19], v[18:19], s[10:11], v[20:21]
	v_add_f64_e32 v[22:23], v[4:5], v[2:3]
	s_delay_alu instid0(VALU_DEP_2)
	v_add_f64_e32 v[130:131], v[65:66], v[18:19]
	v_add_f64_e64 v[134:135], v[65:66], -v[18:19]
	ds_store_b128 v246, v[28:31]
	ds_store_b128 v246, v[36:39] offset:1632
	ds_store_b128 v246, v[32:35] offset:13872
	;; [unrolled: 1-line block ×11, first 2 shown]
	v_fma_f64 v[42:43], v[22:23], -0.5, v[8:9]
	v_add_f64_e32 v[22:23], v[10:11], v[6:7]
	v_add_f64_e64 v[46:47], v[10:11], -v[6:7]
	v_add_f64_e64 v[48:49], v[4:5], -v[2:3]
	s_delay_alu instid0(VALU_DEP_3) | instskip(NEXT) | instid1(VALU_DEP_3)
	v_fma_f64 v[44:45], v[22:23], -0.5, v[14:15]
	v_fma_f64 v[28:29], v[46:47], s[10:11], v[42:43]
	s_delay_alu instid0(VALU_DEP_2) | instskip(NEXT) | instid1(VALU_DEP_2)
	v_fma_f64 v[30:31], v[48:49], s[0:1], v[44:45]
	v_mul_f64_e32 v[22:23], -0.5, v[28:29]
	s_delay_alu instid0(VALU_DEP_1) | instskip(SKIP_1) | instid1(VALU_DEP_1)
	v_fma_f64 v[22:23], v[30:31], s[0:1], v[22:23]
	v_mul_f64_e32 v[30:31], -0.5, v[30:31]
	v_fma_f64 v[30:31], v[28:29], s[10:11], v[30:31]
	s_wait_loadcnt 0x0
	v_mul_f64_e32 v[18:19], v[178:179], v[114:115]
	v_mul_f64_e32 v[20:21], v[176:177], v[114:115]
	s_delay_alu instid0(VALU_DEP_2) | instskip(NEXT) | instid1(VALU_DEP_2)
	v_fma_f64 v[18:19], v[176:177], v[112:113], -v[18:19]
	v_fma_f64 v[20:21], v[178:179], v[112:113], v[20:21]
	s_delay_alu instid0(VALU_DEP_2) | instskip(NEXT) | instid1(VALU_DEP_2)
	v_add_f64_e32 v[28:29], v[12:13], v[18:19]
	v_add_f64_e64 v[38:39], v[16:17], -v[20:21]
	v_add_f64_e64 v[40:41], v[12:13], -v[18:19]
	s_delay_alu instid0(VALU_DEP_3) | instskip(SKIP_1) | instid1(VALU_DEP_1)
	v_fma_f64 v[32:33], v[28:29], -0.5, v[196:197]
	v_add_f64_e32 v[28:29], v[16:17], v[20:21]
	v_fma_f64 v[36:37], v[28:29], -0.5, v[198:199]
	s_delay_alu instid0(VALU_DEP_3) | instskip(NEXT) | instid1(VALU_DEP_2)
	v_fma_f64 v[28:29], v[38:39], s[10:11], v[32:33]
	v_fma_f64 v[34:35], v[40:41], s[0:1], v[36:37]
	s_delay_alu instid0(VALU_DEP_2) | instskip(NEXT) | instid1(VALU_DEP_2)
	v_add_f64_e64 v[176:177], v[28:29], -v[22:23]
	v_add_f64_e64 v[178:179], v[34:35], -v[30:31]
	s_and_saveexec_b32 s10, vcc_lo
	s_cbranch_execz .LBB0_5
; %bb.4:
	v_mul_f64_e32 v[46:47], s[0:1], v[46:47]
	v_mul_f64_e32 v[48:49], s[0:1], v[48:49]
	v_add_f64_e32 v[16:17], v[198:199], v[16:17]
	v_add_f64_e32 v[10:11], v[14:15], v[10:11]
	;; [unrolled: 1-line block ×4, first 2 shown]
	v_mul_f64_e32 v[8:9], s[0:1], v[40:41]
	v_mul_f64_e32 v[38:39], s[0:1], v[38:39]
	v_add_f64_e32 v[42:43], v[46:47], v[42:43]
	v_add_f64_e64 v[44:45], v[44:45], -v[48:49]
	v_add_f64_e32 v[16:17], v[16:17], v[20:21]
	v_add_f64_e32 v[10:11], v[10:11], v[6:7]
	;; [unrolled: 1-line block ×4, first 2 shown]
	v_add_f64_e64 v[36:37], v[36:37], -v[8:9]
	v_add_f64_e32 v[32:33], v[38:39], v[32:33]
	v_add_f64_e32 v[4:5], v[34:35], v[30:31]
	;; [unrolled: 1-line block ×3, first 2 shown]
	v_mul_f64_e32 v[14:15], s[0:1], v[42:43]
	v_mul_f64_e32 v[40:41], s[0:1], v[44:45]
	v_add_f64_e64 v[8:9], v[16:17], -v[10:11]
	v_add_f64_e32 v[12:13], v[16:17], v[10:11]
	v_add_f64_e64 v[6:7], v[18:19], -v[20:21]
	v_add_f64_e32 v[10:11], v[18:19], v[20:21]
	v_fma_f64 v[14:15], v[44:45], 0.5, -v[14:15]
	v_fma_f64 v[38:39], v[42:43], 0.5, v[40:41]
	s_delay_alu instid0(VALU_DEP_2) | instskip(NEXT) | instid1(VALU_DEP_2)
	v_add_f64_e32 v[20:21], v[36:37], v[14:15]
	v_add_f64_e32 v[18:19], v[32:33], v[38:39]
	v_add_f64_e64 v[16:17], v[36:37], -v[14:15]
	v_add_f64_e64 v[14:15], v[32:33], -v[38:39]
	ds_store_b128 v246, v[2:5] offset:12512
	ds_store_b128 v246, v[6:9] offset:17136
	;; [unrolled: 1-line block ×6, first 2 shown]
.LBB0_5:
	s_wait_alu 0xfffe
	s_or_b32 exec_lo, exec_lo, s10
	global_wb scope:SCOPE_SE
	s_wait_dscnt 0x0
	s_barrier_signal -1
	s_barrier_wait -1
	global_inv scope:SCOPE_SE
	global_load_b128 v[6:9], v[0:1], off offset:27744
	ds_load_b128 v[2:5], v246
	s_add_nc_u64 s[0:1], s[8:9], 0x6c60
	s_mov_b32 s48, 0x5d8e7cdc
	s_mov_b32 s36, 0x2a9d6da3
	;; [unrolled: 1-line block ×33, first 2 shown]
	s_wait_alu 0xfffe
	s_mov_b32 s44, s48
	s_mov_b32 s35, 0x3fe58eea
	;; [unrolled: 1-line block ×13, first 2 shown]
	s_wait_loadcnt_dscnt 0x0
	v_mul_f64_e32 v[0:1], v[4:5], v[8:9]
	s_delay_alu instid0(VALU_DEP_1) | instskip(SKIP_1) | instid1(VALU_DEP_1)
	v_fma_f64 v[0:1], v[2:3], v[6:7], -v[0:1]
	v_mul_f64_e32 v[2:3], v[2:3], v[8:9]
	v_fma_f64 v[2:3], v[4:5], v[6:7], v[2:3]
	global_load_b128 v[4:7], v246, s[0:1] offset:1632
	ds_store_b128 v246, v[0:3]
	ds_load_b128 v[0:3], v246 offset:1632
	s_wait_loadcnt_dscnt 0x0
	v_mul_f64_e32 v[8:9], v[2:3], v[6:7]
	s_delay_alu instid0(VALU_DEP_1) | instskip(SKIP_1) | instid1(VALU_DEP_1)
	v_fma_f64 v[8:9], v[0:1], v[4:5], -v[8:9]
	v_mul_f64_e32 v[0:1], v[0:1], v[6:7]
	v_fma_f64 v[10:11], v[2:3], v[4:5], v[0:1]
	ds_load_b128 v[0:3], v246 offset:3264
	global_load_b128 v[4:7], v246, s[0:1] offset:3264
	ds_store_b128 v246, v[8:11] offset:1632
	s_wait_loadcnt_dscnt 0x1
	v_mul_f64_e32 v[8:9], v[2:3], v[6:7]
	s_delay_alu instid0(VALU_DEP_1) | instskip(SKIP_1) | instid1(VALU_DEP_1)
	v_fma_f64 v[8:9], v[0:1], v[4:5], -v[8:9]
	v_mul_f64_e32 v[0:1], v[0:1], v[6:7]
	v_fma_f64 v[10:11], v[2:3], v[4:5], v[0:1]
	ds_load_b128 v[0:3], v246 offset:4896
	global_load_b128 v[4:7], v246, s[0:1] offset:4896
	ds_store_b128 v246, v[8:11] offset:3264
	;; [unrolled: 9-line block ×14, first 2 shown]
	s_wait_loadcnt_dscnt 0x1
	v_mul_f64_e32 v[8:9], v[2:3], v[6:7]
	s_delay_alu instid0(VALU_DEP_1) | instskip(SKIP_1) | instid1(VALU_DEP_1)
	v_fma_f64 v[8:9], v[0:1], v[4:5], -v[8:9]
	v_mul_f64_e32 v[0:1], v[0:1], v[6:7]
	v_fma_f64 v[10:11], v[2:3], v[4:5], v[0:1]
	ds_load_b128 v[0:3], v246 offset:26112
	global_load_b128 v[4:7], v246, s[0:1] offset:26112
	s_mov_b32 s1, 0x3fefdd0d
	s_mov_b32 s0, s10
	ds_store_b128 v246, v[8:11] offset:24480
	s_wait_loadcnt_dscnt 0x1
	v_mul_f64_e32 v[8:9], v[2:3], v[6:7]
	s_delay_alu instid0(VALU_DEP_1) | instskip(SKIP_1) | instid1(VALU_DEP_1)
	v_fma_f64 v[8:9], v[0:1], v[4:5], -v[8:9]
	v_mul_f64_e32 v[0:1], v[0:1], v[6:7]
	v_fma_f64 v[10:11], v[2:3], v[4:5], v[0:1]
	ds_store_b128 v246, v[8:11] offset:26112
	global_wb scope:SCOPE_SE
	s_wait_dscnt 0x0
	s_barrier_signal -1
	s_barrier_wait -1
	global_inv scope:SCOPE_SE
	ds_load_b128 v[0:3], v246
	ds_load_b128 v[4:7], v246 offset:1632
	ds_load_b128 v[8:11], v246 offset:3264
	;; [unrolled: 1-line block ×16, first 2 shown]
	global_wb scope:SCOPE_SE
	s_wait_dscnt 0x0
	s_barrier_signal -1
	s_barrier_wait -1
	global_inv scope:SCOPE_SE
	v_add_f64_e32 v[38:39], v[2:3], v[6:7]
	v_add_f64_e32 v[36:37], v[0:1], v[4:5]
	s_delay_alu instid0(VALU_DEP_2) | instskip(NEXT) | instid1(VALU_DEP_2)
	v_add_f64_e32 v[38:39], v[38:39], v[10:11]
	v_add_f64_e32 v[36:37], v[36:37], v[8:9]
	s_delay_alu instid0(VALU_DEP_2) | instskip(NEXT) | instid1(VALU_DEP_2)
	;; [unrolled: 3-line block ×14, first 2 shown]
	v_add_f64_e32 v[38:39], v[38:39], v[30:31]
	v_add_f64_e32 v[36:37], v[36:37], v[28:29]
	s_delay_alu instid0(VALU_DEP_2) | instskip(SKIP_2) | instid1(VALU_DEP_4)
	v_add_f64_e32 v[198:199], v[38:39], v[34:35]
	v_add_f64_e32 v[38:39], v[6:7], v[34:35]
	v_add_f64_e64 v[6:7], v[6:7], -v[34:35]
	v_add_f64_e32 v[196:197], v[36:37], v[32:33]
	v_add_f64_e32 v[36:37], v[4:5], v[32:33]
	v_add_f64_e64 v[4:5], v[4:5], -v[32:33]
	v_mul_f64_e32 v[40:41], s[42:43], v[38:39]
	v_mul_f64_e32 v[32:33], s[48:49], v[6:7]
	;; [unrolled: 1-line block ×16, first 2 shown]
	s_wait_alu 0xfffe
	v_fma_f64 v[42:43], v[4:5], s[44:45], v[40:41]
	v_fma_f64 v[34:35], v[36:37], s[42:43], v[32:33]
	v_fma_f64 v[32:33], v[36:37], s[42:43], -v[32:33]
	v_fma_f64 v[46:47], v[36:37], s[30:31], v[44:45]
	v_fma_f64 v[44:45], v[36:37], s[30:31], -v[44:45]
	;; [unrolled: 2-line block ×8, first 2 shown]
	v_fma_f64 v[40:41], v[4:5], s[48:49], v[40:41]
	v_fma_f64 v[50:51], v[4:5], s[34:35], v[48:49]
	;; [unrolled: 1-line block ×15, first 2 shown]
	v_add_f64_e32 v[42:43], v[2:3], v[42:43]
	v_add_f64_e32 v[34:35], v[0:1], v[34:35]
	;; [unrolled: 1-line block ×18, first 2 shown]
	v_add_f64_e64 v[10:11], v[10:11], -v[30:31]
	v_add_f64_e32 v[40:41], v[2:3], v[40:41]
	v_add_f64_e32 v[50:51], v[2:3], v[50:51]
	;; [unrolled: 1-line block ×16, first 2 shown]
	v_add_f64_e64 v[8:9], v[8:9], -v[28:29]
	v_mul_f64_e32 v[28:29], s[36:37], v[10:11]
	s_delay_alu instid0(VALU_DEP_1) | instskip(SKIP_1) | instid1(VALU_DEP_2)
	v_fma_f64 v[30:31], v[4:5], s[30:31], v[28:29]
	v_fma_f64 v[28:29], v[4:5], s[30:31], -v[28:29]
	v_add_f64_e32 v[30:31], v[30:31], v[34:35]
	v_mul_f64_e32 v[34:35], s[30:31], v[6:7]
	s_delay_alu instid0(VALU_DEP_3) | instskip(NEXT) | instid1(VALU_DEP_2)
	v_add_f64_e32 v[28:29], v[28:29], v[32:33]
	v_fma_f64 v[36:37], v[8:9], s[34:35], v[34:35]
	v_fma_f64 v[32:33], v[8:9], s[36:37], v[34:35]
	v_mul_f64_e32 v[34:35], s[10:11], v[10:11]
	s_delay_alu instid0(VALU_DEP_3) | instskip(NEXT) | instid1(VALU_DEP_3)
	v_add_f64_e32 v[36:37], v[36:37], v[42:43]
	v_add_f64_e32 v[32:33], v[32:33], v[40:41]
	s_delay_alu instid0(VALU_DEP_3) | instskip(SKIP_2) | instid1(VALU_DEP_3)
	v_fma_f64 v[38:39], v[4:5], s[8:9], v[34:35]
	v_fma_f64 v[34:35], v[4:5], s[8:9], -v[34:35]
	v_mul_f64_e32 v[40:41], s[8:9], v[6:7]
	v_add_f64_e32 v[38:39], v[38:39], v[46:47]
	s_delay_alu instid0(VALU_DEP_3) | instskip(SKIP_1) | instid1(VALU_DEP_4)
	v_add_f64_e32 v[34:35], v[34:35], v[44:45]
	v_mul_f64_e32 v[44:45], s[24:25], v[10:11]
	v_fma_f64 v[42:43], v[8:9], s[0:1], v[40:41]
	v_fma_f64 v[40:41], v[8:9], s[10:11], v[40:41]
	s_delay_alu instid0(VALU_DEP_3) | instskip(SKIP_1) | instid1(VALU_DEP_3)
	v_fma_f64 v[46:47], v[4:5], s[26:27], v[44:45]
	v_fma_f64 v[44:45], v[4:5], s[26:27], -v[44:45]
	v_add_f64_e32 v[40:41], v[40:41], v[48:49]
	v_mul_f64_e32 v[48:49], s[26:27], v[6:7]
	v_add_f64_e32 v[42:43], v[42:43], v[50:51]
	v_add_f64_e32 v[46:47], v[46:47], v[54:55]
	v_add_f64_e32 v[44:45], v[44:45], v[52:53]
	v_mul_f64_e32 v[52:53], s[50:51], v[10:11]
	v_fma_f64 v[50:51], v[8:9], s[28:29], v[48:49]
	v_fma_f64 v[48:49], v[8:9], s[24:25], v[48:49]
	s_delay_alu instid0(VALU_DEP_3) | instskip(SKIP_1) | instid1(VALU_DEP_3)
	v_fma_f64 v[54:55], v[4:5], s[52:53], v[52:53]
	v_fma_f64 v[52:53], v[4:5], s[52:53], -v[52:53]
	v_add_f64_e32 v[48:49], v[48:49], v[57:58]
	v_mul_f64_e32 v[57:58], s[52:53], v[6:7]
	v_add_f64_e32 v[50:51], v[50:51], v[59:60]
	v_add_f64_e32 v[54:55], v[54:55], v[63:64]
	;; [unrolled: 11-line block ×4, first 2 shown]
	v_add_f64_e32 v[126:127], v[126:127], v[134:135]
	v_mul_f64_e32 v[134:135], s[20:21], v[10:11]
	v_fma_f64 v[132:133], v[8:9], s[12:13], v[130:131]
	v_fma_f64 v[130:131], v[8:9], s[16:17], v[130:131]
	v_mul_f64_e32 v[10:11], s[44:45], v[10:11]
	s_delay_alu instid0(VALU_DEP_4) | instskip(SKIP_1) | instid1(VALU_DEP_4)
	v_fma_f64 v[136:137], v[4:5], s[18:19], v[134:135]
	v_fma_f64 v[134:135], v[4:5], s[18:19], -v[134:135]
	v_add_f64_e32 v[130:131], v[130:131], v[138:139]
	v_mul_f64_e32 v[138:139], s[18:19], v[6:7]
	v_mul_f64_e32 v[6:7], s[42:43], v[6:7]
	v_add_f64_e32 v[132:133], v[132:133], v[140:141]
	v_add_f64_e32 v[136:137], v[136:137], v[144:145]
	;; [unrolled: 1-line block ×3, first 2 shown]
	v_fma_f64 v[142:143], v[4:5], s[42:43], v[10:11]
	v_fma_f64 v[4:5], v[4:5], s[42:43], -v[10:11]
	v_add_f64_e64 v[10:11], v[14:15], -v[22:23]
	v_fma_f64 v[140:141], v[8:9], s[22:23], v[138:139]
	v_fma_f64 v[138:139], v[8:9], s[20:21], v[138:139]
	v_fma_f64 v[144:145], v[8:9], s[48:49], v[6:7]
	v_add_f64_e32 v[142:143], v[142:143], v[238:239]
	v_add_f64_e32 v[0:1], v[4:5], v[0:1]
	v_fma_f64 v[4:5], v[8:9], s[44:45], v[6:7]
	v_add_f64_e64 v[8:9], v[12:13], -v[20:21]
	v_add_f64_e32 v[6:7], v[14:15], v[22:23]
	v_add_f64_e32 v[138:139], v[138:139], v[146:147]
	;; [unrolled: 1-line block ×6, first 2 shown]
	v_mul_f64_e32 v[12:13], s[22:23], v[10:11]
	v_mul_f64_e32 v[20:21], s[18:19], v[6:7]
	s_delay_alu instid0(VALU_DEP_2) | instskip(SKIP_1) | instid1(VALU_DEP_3)
	v_fma_f64 v[14:15], v[4:5], s[18:19], v[12:13]
	v_fma_f64 v[12:13], v[4:5], s[18:19], -v[12:13]
	v_fma_f64 v[22:23], v[8:9], s[20:21], v[20:21]
	v_fma_f64 v[20:21], v[8:9], s[22:23], v[20:21]
	s_delay_alu instid0(VALU_DEP_4) | instskip(NEXT) | instid1(VALU_DEP_4)
	v_add_f64_e32 v[14:15], v[14:15], v[30:31]
	v_add_f64_e32 v[12:13], v[12:13], v[28:29]
	v_mul_f64_e32 v[28:29], s[24:25], v[10:11]
	s_delay_alu instid0(VALU_DEP_4) | instskip(SKIP_2) | instid1(VALU_DEP_4)
	v_add_f64_e32 v[20:21], v[20:21], v[32:33]
	v_mul_f64_e32 v[32:33], s[26:27], v[6:7]
	v_add_f64_e32 v[22:23], v[22:23], v[36:37]
	v_fma_f64 v[30:31], v[4:5], s[26:27], v[28:29]
	v_fma_f64 v[28:29], v[4:5], s[26:27], -v[28:29]
	s_delay_alu instid0(VALU_DEP_4) | instskip(SKIP_1) | instid1(VALU_DEP_4)
	v_fma_f64 v[36:37], v[8:9], s[28:29], v[32:33]
	v_fma_f64 v[32:33], v[8:9], s[24:25], v[32:33]
	v_add_f64_e32 v[30:31], v[30:31], v[38:39]
	s_delay_alu instid0(VALU_DEP_4) | instskip(SKIP_1) | instid1(VALU_DEP_4)
	v_add_f64_e32 v[28:29], v[28:29], v[34:35]
	v_mul_f64_e32 v[34:35], s[54:55], v[10:11]
	v_add_f64_e32 v[32:33], v[32:33], v[40:41]
	v_mul_f64_e32 v[40:41], s[52:53], v[6:7]
	v_add_f64_e32 v[36:37], v[36:37], v[42:43]
	s_delay_alu instid0(VALU_DEP_4) | instskip(SKIP_1) | instid1(VALU_DEP_4)
	v_fma_f64 v[38:39], v[4:5], s[52:53], v[34:35]
	v_fma_f64 v[34:35], v[4:5], s[52:53], -v[34:35]
	v_fma_f64 v[42:43], v[8:9], s[50:51], v[40:41]
	v_fma_f64 v[40:41], v[8:9], s[54:55], v[40:41]
	s_delay_alu instid0(VALU_DEP_4) | instskip(NEXT) | instid1(VALU_DEP_4)
	v_add_f64_e32 v[38:39], v[38:39], v[46:47]
	v_add_f64_e32 v[34:35], v[34:35], v[44:45]
	v_mul_f64_e32 v[44:45], s[16:17], v[10:11]
	s_delay_alu instid0(VALU_DEP_4) | instskip(SKIP_2) | instid1(VALU_DEP_4)
	v_add_f64_e32 v[40:41], v[40:41], v[48:49]
	v_mul_f64_e32 v[48:49], s[14:15], v[6:7]
	v_add_f64_e32 v[42:43], v[42:43], v[50:51]
	v_fma_f64 v[46:47], v[4:5], s[14:15], v[44:45]
	v_fma_f64 v[44:45], v[4:5], s[14:15], -v[44:45]
	s_delay_alu instid0(VALU_DEP_4) | instskip(SKIP_1) | instid1(VALU_DEP_4)
	v_fma_f64 v[50:51], v[8:9], s[12:13], v[48:49]
	v_fma_f64 v[48:49], v[8:9], s[16:17], v[48:49]
	v_add_f64_e32 v[46:47], v[46:47], v[54:55]
	s_delay_alu instid0(VALU_DEP_4) | instskip(SKIP_1) | instid1(VALU_DEP_4)
	v_add_f64_e32 v[44:45], v[44:45], v[52:53]
	v_mul_f64_e32 v[52:53], s[34:35], v[10:11]
	v_add_f64_e32 v[48:49], v[48:49], v[57:58]
	v_mul_f64_e32 v[57:58], s[30:31], v[6:7]
	v_add_f64_e32 v[50:51], v[50:51], v[59:60]
	s_delay_alu instid0(VALU_DEP_4) | instskip(SKIP_1) | instid1(VALU_DEP_4)
	v_fma_f64 v[54:55], v[4:5], s[30:31], v[52:53]
	v_fma_f64 v[52:53], v[4:5], s[30:31], -v[52:53]
	v_fma_f64 v[59:60], v[8:9], s[36:37], v[57:58]
	v_fma_f64 v[57:58], v[8:9], s[34:35], v[57:58]
	s_delay_alu instid0(VALU_DEP_4) | instskip(NEXT) | instid1(VALU_DEP_4)
	v_add_f64_e32 v[54:55], v[54:55], v[63:64]
	v_add_f64_e32 v[52:53], v[52:53], v[61:62]
	v_mul_f64_e32 v[61:62], s[48:49], v[10:11]
	s_delay_alu instid0(VALU_DEP_4) | instskip(SKIP_2) | instid1(VALU_DEP_4)
	v_add_f64_e32 v[57:58], v[57:58], v[65:66]
	v_mul_f64_e32 v[65:66], s[42:43], v[6:7]
	v_add_f64_e32 v[59:60], v[59:60], v[124:125]
	v_fma_f64 v[63:64], v[4:5], s[42:43], v[61:62]
	v_fma_f64 v[61:62], v[4:5], s[42:43], -v[61:62]
	s_delay_alu instid0(VALU_DEP_4) | instskip(SKIP_1) | instid1(VALU_DEP_4)
	v_fma_f64 v[124:125], v[8:9], s[44:45], v[65:66]
	v_fma_f64 v[65:66], v[8:9], s[48:49], v[65:66]
	v_add_f64_e32 v[63:64], v[63:64], v[128:129]
	s_delay_alu instid0(VALU_DEP_4)
	v_add_f64_e32 v[61:62], v[61:62], v[126:127]
	v_mul_f64_e32 v[126:127], s[10:11], v[10:11]
	v_mul_f64_e32 v[10:11], s[38:39], v[10:11]
	v_add_f64_e32 v[65:66], v[65:66], v[130:131]
	v_mul_f64_e32 v[130:131], s[8:9], v[6:7]
	v_mul_f64_e32 v[6:7], s[40:41], v[6:7]
	v_add_f64_e32 v[124:125], v[124:125], v[132:133]
	v_fma_f64 v[128:129], v[4:5], s[8:9], v[126:127]
	v_fma_f64 v[126:127], v[4:5], s[8:9], -v[126:127]
	v_fma_f64 v[132:133], v[8:9], s[0:1], v[130:131]
	v_fma_f64 v[130:131], v[8:9], s[10:11], v[130:131]
	s_delay_alu instid0(VALU_DEP_4) | instskip(NEXT) | instid1(VALU_DEP_4)
	v_add_f64_e32 v[128:129], v[128:129], v[136:137]
	v_add_f64_e32 v[126:127], v[126:127], v[134:135]
	v_fma_f64 v[134:135], v[4:5], s[40:41], v[10:11]
	v_fma_f64 v[4:5], v[4:5], s[40:41], -v[10:11]
	v_add_f64_e64 v[10:11], v[234:235], -v[18:19]
	v_fma_f64 v[136:137], v[8:9], s[46:47], v[6:7]
	v_add_f64_e32 v[130:131], v[130:131], v[138:139]
	v_add_f64_e32 v[132:133], v[132:133], v[140:141]
	;; [unrolled: 1-line block ×4, first 2 shown]
	v_fma_f64 v[4:5], v[8:9], s[38:39], v[6:7]
	v_add_f64_e64 v[8:9], v[232:233], -v[16:17]
	v_add_f64_e32 v[6:7], v[234:235], v[18:19]
	v_add_f64_e32 v[136:137], v[136:137], v[144:145]
	s_delay_alu instid0(VALU_DEP_4) | instskip(SKIP_2) | instid1(VALU_DEP_1)
	v_add_f64_e32 v[2:3], v[4:5], v[2:3]
	v_add_f64_e32 v[4:5], v[232:233], v[16:17]
	v_mul_f64_e32 v[16:17], s[10:11], v[10:11]
	v_fma_f64 v[18:19], v[4:5], s[8:9], v[16:17]
	v_fma_f64 v[16:17], v[4:5], s[8:9], -v[16:17]
	s_delay_alu instid0(VALU_DEP_2) | instskip(SKIP_1) | instid1(VALU_DEP_3)
	v_add_f64_e32 v[14:15], v[18:19], v[14:15]
	v_mul_f64_e32 v[18:19], s[8:9], v[6:7]
	v_add_f64_e32 v[12:13], v[16:17], v[12:13]
	s_delay_alu instid0(VALU_DEP_2) | instskip(SKIP_2) | instid1(VALU_DEP_3)
	v_fma_f64 v[138:139], v[8:9], s[0:1], v[18:19]
	v_fma_f64 v[16:17], v[8:9], s[10:11], v[18:19]
	v_mul_f64_e32 v[18:19], s[50:51], v[10:11]
	v_add_f64_e32 v[22:23], v[138:139], v[22:23]
	s_delay_alu instid0(VALU_DEP_3) | instskip(NEXT) | instid1(VALU_DEP_3)
	v_add_f64_e32 v[16:17], v[16:17], v[20:21]
	v_fma_f64 v[20:21], v[4:5], s[52:53], v[18:19]
	v_fma_f64 v[18:19], v[4:5], s[52:53], -v[18:19]
	s_delay_alu instid0(VALU_DEP_2) | instskip(SKIP_1) | instid1(VALU_DEP_3)
	v_add_f64_e32 v[20:21], v[20:21], v[30:31]
	v_mul_f64_e32 v[30:31], s[52:53], v[6:7]
	v_add_f64_e32 v[18:19], v[18:19], v[28:29]
	s_delay_alu instid0(VALU_DEP_2) | instskip(SKIP_2) | instid1(VALU_DEP_3)
	v_fma_f64 v[138:139], v[8:9], s[54:55], v[30:31]
	v_fma_f64 v[28:29], v[8:9], s[50:51], v[30:31]
	v_mul_f64_e32 v[30:31], s[16:17], v[10:11]
	v_add_f64_e32 v[36:37], v[138:139], v[36:37]
	s_delay_alu instid0(VALU_DEP_3) | instskip(NEXT) | instid1(VALU_DEP_3)
	v_add_f64_e32 v[28:29], v[28:29], v[32:33]
	;; [unrolled: 13-line block ×5, first 2 shown]
	v_fma_f64 v[57:58], v[4:5], s[40:41], v[54:55]
	v_fma_f64 v[54:55], v[4:5], s[40:41], -v[54:55]
	s_delay_alu instid0(VALU_DEP_2) | instskip(SKIP_1) | instid1(VALU_DEP_3)
	v_add_f64_e32 v[57:58], v[57:58], v[63:64]
	v_mul_f64_e32 v[63:64], s[40:41], v[6:7]
	v_add_f64_e32 v[54:55], v[54:55], v[61:62]
	s_delay_alu instid0(VALU_DEP_2) | instskip(SKIP_3) | instid1(VALU_DEP_4)
	v_fma_f64 v[138:139], v[8:9], s[46:47], v[63:64]
	v_fma_f64 v[61:62], v[8:9], s[38:39], v[63:64]
	v_mul_f64_e32 v[63:64], s[28:29], v[10:11]
	v_mul_f64_e32 v[10:11], s[34:35], v[10:11]
	v_add_f64_e32 v[124:125], v[138:139], v[124:125]
	s_delay_alu instid0(VALU_DEP_4) | instskip(NEXT) | instid1(VALU_DEP_4)
	v_add_f64_e32 v[61:62], v[61:62], v[65:66]
	v_fma_f64 v[65:66], v[4:5], s[26:27], v[63:64]
	v_fma_f64 v[63:64], v[4:5], s[26:27], -v[63:64]
	s_delay_alu instid0(VALU_DEP_2) | instskip(SKIP_1) | instid1(VALU_DEP_3)
	v_add_f64_e32 v[65:66], v[65:66], v[128:129]
	v_mul_f64_e32 v[128:129], s[26:27], v[6:7]
	v_add_f64_e32 v[63:64], v[63:64], v[126:127]
	v_mul_f64_e32 v[6:7], s[30:31], v[6:7]
	s_delay_alu instid0(VALU_DEP_3)
	v_fma_f64 v[138:139], v[8:9], s[24:25], v[128:129]
	v_fma_f64 v[126:127], v[8:9], s[28:29], v[128:129]
	;; [unrolled: 1-line block ×3, first 2 shown]
	v_fma_f64 v[4:5], v[4:5], s[30:31], -v[10:11]
	v_add_f64_e64 v[10:11], v[226:227], -v[230:231]
	v_add_f64_e32 v[132:133], v[138:139], v[132:133]
	v_add_f64_e32 v[126:127], v[126:127], v[130:131]
	;; [unrolled: 1-line block ×4, first 2 shown]
	v_fma_f64 v[4:5], v[8:9], s[34:35], v[6:7]
	v_fma_f64 v[130:131], v[8:9], s[36:37], v[6:7]
	v_mul_f64_e32 v[134:135], s[12:13], v[10:11]
	v_add_f64_e32 v[6:7], v[226:227], v[230:231]
	v_add_f64_e64 v[8:9], v[224:225], -v[228:229]
	v_add_f64_e32 v[2:3], v[4:5], v[2:3]
	v_add_f64_e32 v[4:5], v[224:225], v[228:229]
	;; [unrolled: 1-line block ×3, first 2 shown]
	s_delay_alu instid0(VALU_DEP_2) | instskip(SKIP_1) | instid1(VALU_DEP_2)
	v_fma_f64 v[136:137], v[4:5], s[14:15], v[134:135]
	v_fma_f64 v[134:135], v[4:5], s[14:15], -v[134:135]
	v_add_f64_e32 v[14:15], v[136:137], v[14:15]
	v_mul_f64_e32 v[136:137], s[14:15], v[6:7]
	s_delay_alu instid0(VALU_DEP_3) | instskip(NEXT) | instid1(VALU_DEP_2)
	v_add_f64_e32 v[12:13], v[134:135], v[12:13]
	v_fma_f64 v[134:135], v[8:9], s[12:13], v[136:137]
	v_fma_f64 v[138:139], v[8:9], s[16:17], v[136:137]
	s_delay_alu instid0(VALU_DEP_2) | instskip(SKIP_1) | instid1(VALU_DEP_3)
	v_add_f64_e32 v[16:17], v[134:135], v[16:17]
	v_mul_f64_e32 v[134:135], s[46:47], v[10:11]
	v_add_f64_e32 v[22:23], v[138:139], v[22:23]
	s_delay_alu instid0(VALU_DEP_2) | instskip(SKIP_1) | instid1(VALU_DEP_2)
	v_fma_f64 v[136:137], v[4:5], s[40:41], v[134:135]
	v_fma_f64 v[134:135], v[4:5], s[40:41], -v[134:135]
	v_add_f64_e32 v[20:21], v[136:137], v[20:21]
	v_mul_f64_e32 v[136:137], s[40:41], v[6:7]
	s_delay_alu instid0(VALU_DEP_3) | instskip(NEXT) | instid1(VALU_DEP_2)
	v_add_f64_e32 v[18:19], v[134:135], v[18:19]
	v_fma_f64 v[134:135], v[8:9], s[46:47], v[136:137]
	v_fma_f64 v[138:139], v[8:9], s[38:39], v[136:137]
	s_delay_alu instid0(VALU_DEP_2) | instskip(SKIP_1) | instid1(VALU_DEP_3)
	v_add_f64_e32 v[28:29], v[134:135], v[28:29]
	v_mul_f64_e32 v[134:135], s[34:35], v[10:11]
	v_add_f64_e32 v[36:37], v[138:139], v[36:37]
	;; [unrolled: 13-line block ×5, first 2 shown]
	s_delay_alu instid0(VALU_DEP_2) | instskip(SKIP_1) | instid1(VALU_DEP_2)
	v_fma_f64 v[136:137], v[4:5], s[8:9], v[134:135]
	v_fma_f64 v[134:135], v[4:5], s[8:9], -v[134:135]
	v_add_f64_e32 v[57:58], v[136:137], v[57:58]
	v_mul_f64_e32 v[136:137], s[8:9], v[6:7]
	s_delay_alu instid0(VALU_DEP_3) | instskip(NEXT) | instid1(VALU_DEP_2)
	v_add_f64_e32 v[54:55], v[134:135], v[54:55]
	v_fma_f64 v[134:135], v[8:9], s[0:1], v[136:137]
	v_fma_f64 v[138:139], v[8:9], s[10:11], v[136:137]
	s_delay_alu instid0(VALU_DEP_2) | instskip(SKIP_2) | instid1(VALU_DEP_4)
	v_add_f64_e32 v[61:62], v[134:135], v[61:62]
	v_mul_f64_e32 v[134:135], s[48:49], v[10:11]
	v_mul_f64_e32 v[10:11], s[24:25], v[10:11]
	v_add_f64_e32 v[124:125], v[138:139], v[124:125]
	s_delay_alu instid0(VALU_DEP_3) | instskip(SKIP_1) | instid1(VALU_DEP_2)
	v_fma_f64 v[136:137], v[4:5], s[42:43], v[134:135]
	v_fma_f64 v[134:135], v[4:5], s[42:43], -v[134:135]
	v_add_f64_e32 v[65:66], v[136:137], v[65:66]
	v_mul_f64_e32 v[136:137], s[42:43], v[6:7]
	s_delay_alu instid0(VALU_DEP_3) | instskip(SKIP_1) | instid1(VALU_DEP_3)
	v_add_f64_e32 v[63:64], v[134:135], v[63:64]
	v_mul_f64_e32 v[6:7], s[26:27], v[6:7]
	v_fma_f64 v[134:135], v[8:9], s[48:49], v[136:137]
	v_fma_f64 v[138:139], v[8:9], s[44:45], v[136:137]
	s_delay_alu instid0(VALU_DEP_2) | instskip(SKIP_4) | instid1(VALU_DEP_4)
	v_add_f64_e32 v[126:127], v[134:135], v[126:127]
	v_fma_f64 v[134:135], v[4:5], s[26:27], v[10:11]
	v_fma_f64 v[4:5], v[4:5], s[26:27], -v[10:11]
	v_add_f64_e64 v[10:11], v[218:219], -v[222:223]
	v_add_f64_e32 v[132:133], v[138:139], v[132:133]
	v_add_f64_e32 v[128:129], v[134:135], v[128:129]
	v_fma_f64 v[134:135], v[8:9], s[28:29], v[6:7]
	v_add_f64_e32 v[0:1], v[4:5], v[0:1]
	v_fma_f64 v[4:5], v[8:9], s[24:25], v[6:7]
	v_add_f64_e32 v[6:7], v[218:219], v[222:223]
	v_add_f64_e64 v[8:9], v[216:217], -v[220:221]
	v_add_f64_e32 v[130:131], v[134:135], v[130:131]
	v_mul_f64_e32 v[134:135], s[24:25], v[10:11]
	v_add_f64_e32 v[2:3], v[4:5], v[2:3]
	v_add_f64_e32 v[4:5], v[216:217], v[220:221]
	s_delay_alu instid0(VALU_DEP_1) | instskip(SKIP_1) | instid1(VALU_DEP_2)
	v_fma_f64 v[136:137], v[4:5], s[26:27], v[134:135]
	v_fma_f64 v[134:135], v[4:5], s[26:27], -v[134:135]
	v_add_f64_e32 v[14:15], v[136:137], v[14:15]
	v_mul_f64_e32 v[136:137], s[26:27], v[6:7]
	s_delay_alu instid0(VALU_DEP_3) | instskip(NEXT) | instid1(VALU_DEP_2)
	v_add_f64_e32 v[12:13], v[134:135], v[12:13]
	v_fma_f64 v[134:135], v[8:9], s[24:25], v[136:137]
	v_fma_f64 v[138:139], v[8:9], s[28:29], v[136:137]
	s_delay_alu instid0(VALU_DEP_2) | instskip(SKIP_1) | instid1(VALU_DEP_3)
	v_add_f64_e32 v[16:17], v[134:135], v[16:17]
	v_mul_f64_e32 v[134:135], s[16:17], v[10:11]
	v_add_f64_e32 v[22:23], v[138:139], v[22:23]
	s_delay_alu instid0(VALU_DEP_2) | instskip(SKIP_1) | instid1(VALU_DEP_2)
	v_fma_f64 v[136:137], v[4:5], s[14:15], v[134:135]
	v_fma_f64 v[134:135], v[4:5], s[14:15], -v[134:135]
	v_add_f64_e32 v[20:21], v[136:137], v[20:21]
	v_mul_f64_e32 v[136:137], s[14:15], v[6:7]
	s_delay_alu instid0(VALU_DEP_3) | instskip(NEXT) | instid1(VALU_DEP_2)
	v_add_f64_e32 v[18:19], v[134:135], v[18:19]
	v_fma_f64 v[134:135], v[8:9], s[16:17], v[136:137]
	v_fma_f64 v[138:139], v[8:9], s[12:13], v[136:137]
	s_delay_alu instid0(VALU_DEP_2) | instskip(SKIP_1) | instid1(VALU_DEP_3)
	v_add_f64_e32 v[28:29], v[134:135], v[28:29]
	v_mul_f64_e32 v[134:135], s[48:49], v[10:11]
	v_add_f64_e32 v[36:37], v[138:139], v[36:37]
	s_delay_alu instid0(VALU_DEP_2) | instskip(SKIP_1) | instid1(VALU_DEP_2)
	;; [unrolled: 13-line block ×5, first 2 shown]
	v_fma_f64 v[136:137], v[4:5], s[30:31], v[134:135]
	v_fma_f64 v[134:135], v[4:5], s[30:31], -v[134:135]
	v_add_f64_e32 v[57:58], v[136:137], v[57:58]
	v_mul_f64_e32 v[136:137], s[30:31], v[6:7]
	s_delay_alu instid0(VALU_DEP_3) | instskip(NEXT) | instid1(VALU_DEP_2)
	v_add_f64_e32 v[54:55], v[134:135], v[54:55]
	v_fma_f64 v[134:135], v[8:9], s[36:37], v[136:137]
	v_fma_f64 v[138:139], v[8:9], s[34:35], v[136:137]
	s_delay_alu instid0(VALU_DEP_2) | instskip(SKIP_2) | instid1(VALU_DEP_4)
	v_add_f64_e32 v[61:62], v[134:135], v[61:62]
	v_mul_f64_e32 v[134:135], s[50:51], v[10:11]
	v_mul_f64_e32 v[10:11], s[20:21], v[10:11]
	v_add_f64_e32 v[124:125], v[138:139], v[124:125]
	s_delay_alu instid0(VALU_DEP_3) | instskip(SKIP_1) | instid1(VALU_DEP_2)
	v_fma_f64 v[136:137], v[4:5], s[52:53], v[134:135]
	v_fma_f64 v[134:135], v[4:5], s[52:53], -v[134:135]
	v_add_f64_e32 v[65:66], v[136:137], v[65:66]
	v_mul_f64_e32 v[136:137], s[52:53], v[6:7]
	s_delay_alu instid0(VALU_DEP_3) | instskip(SKIP_1) | instid1(VALU_DEP_3)
	v_add_f64_e32 v[63:64], v[134:135], v[63:64]
	v_mul_f64_e32 v[6:7], s[18:19], v[6:7]
	v_fma_f64 v[134:135], v[8:9], s[50:51], v[136:137]
	v_fma_f64 v[138:139], v[8:9], s[54:55], v[136:137]
	v_add_f64_e64 v[136:137], v[210:211], -v[214:215]
	s_delay_alu instid0(VALU_DEP_3) | instskip(SKIP_4) | instid1(VALU_DEP_4)
	v_add_f64_e32 v[126:127], v[134:135], v[126:127]
	v_fma_f64 v[134:135], v[4:5], s[18:19], v[10:11]
	v_fma_f64 v[4:5], v[4:5], s[18:19], -v[10:11]
	v_add_f64_e32 v[10:11], v[210:211], v[214:215]
	v_add_f64_e32 v[132:133], v[138:139], v[132:133]
	v_add_f64_e32 v[128:129], v[134:135], v[128:129]
	s_delay_alu instid0(VALU_DEP_4) | instskip(SKIP_3) | instid1(VALU_DEP_3)
	v_add_f64_e32 v[4:5], v[4:5], v[0:1]
	v_fma_f64 v[0:1], v[8:9], s[20:21], v[6:7]
	v_fma_f64 v[134:135], v[8:9], s[22:23], v[6:7]
	v_add_f64_e32 v[8:9], v[208:209], v[212:213]
	v_add_f64_e32 v[6:7], v[0:1], v[2:3]
	v_mul_f64_e32 v[0:1], s[38:39], v[136:137]
	s_delay_alu instid0(VALU_DEP_4) | instskip(SKIP_1) | instid1(VALU_DEP_3)
	v_add_f64_e32 v[130:131], v[134:135], v[130:131]
	v_add_f64_e64 v[134:135], v[208:209], -v[212:213]
	v_fma_f64 v[2:3], v[8:9], s[40:41], v[0:1]
	v_fma_f64 v[0:1], v[8:9], s[40:41], -v[0:1]
	s_delay_alu instid0(VALU_DEP_2) | instskip(SKIP_1) | instid1(VALU_DEP_3)
	v_add_f64_e32 v[208:209], v[2:3], v[14:15]
	v_mul_f64_e32 v[2:3], s[40:41], v[10:11]
	v_add_f64_e32 v[212:213], v[0:1], v[12:13]
	s_delay_alu instid0(VALU_DEP_2) | instskip(SKIP_1) | instid1(VALU_DEP_2)
	v_fma_f64 v[0:1], v[134:135], s[38:39], v[2:3]
	v_fma_f64 v[14:15], v[134:135], s[46:47], v[2:3]
	v_add_f64_e32 v[214:215], v[0:1], v[16:17]
	v_mul_f64_e32 v[0:1], s[20:21], v[136:137]
	s_delay_alu instid0(VALU_DEP_3) | instskip(SKIP_2) | instid1(VALU_DEP_4)
	v_add_f64_e32 v[210:211], v[14:15], v[22:23]
	v_mul_f64_e32 v[14:15], s[42:43], v[10:11]
	v_mul_f64_e32 v[16:17], s[52:53], v[10:11]
	v_fma_f64 v[2:3], v[8:9], s[18:19], v[0:1]
	v_fma_f64 v[0:1], v[8:9], s[18:19], -v[0:1]
	s_delay_alu instid0(VALU_DEP_2) | instskip(SKIP_1) | instid1(VALU_DEP_3)
	v_add_f64_e32 v[216:217], v[2:3], v[20:21]
	v_mul_f64_e32 v[2:3], s[18:19], v[10:11]
	v_add_f64_e32 v[220:221], v[0:1], v[18:19]
	v_mul_f64_e32 v[20:21], s[34:35], v[136:137]
	s_delay_alu instid0(VALU_DEP_3) | instskip(SKIP_1) | instid1(VALU_DEP_3)
	v_fma_f64 v[0:1], v[134:135], s[20:21], v[2:3]
	v_fma_f64 v[12:13], v[134:135], s[22:23], v[2:3]
	;; [unrolled: 1-line block ×3, first 2 shown]
	v_fma_f64 v[20:21], v[8:9], s[30:31], -v[20:21]
	s_delay_alu instid0(VALU_DEP_4) | instskip(SKIP_2) | instid1(VALU_DEP_2)
	v_add_f64_e32 v[222:223], v[0:1], v[28:29]
	v_mul_f64_e32 v[0:1], s[10:11], v[136:137]
	v_add_f64_e32 v[218:219], v[12:13], v[36:37]
	v_fma_f64 v[2:3], v[8:9], s[8:9], v[0:1]
	v_fma_f64 v[0:1], v[8:9], s[8:9], -v[0:1]
	s_delay_alu instid0(VALU_DEP_2) | instskip(SKIP_1) | instid1(VALU_DEP_3)
	v_add_f64_e32 v[224:225], v[2:3], v[32:33]
	v_mul_f64_e32 v[2:3], s[8:9], v[10:11]
	v_add_f64_e32 v[228:229], v[0:1], v[30:31]
	s_delay_alu instid0(VALU_DEP_2) | instskip(SKIP_1) | instid1(VALU_DEP_2)
	v_fma_f64 v[0:1], v[134:135], s[10:11], v[2:3]
	v_fma_f64 v[12:13], v[134:135], s[0:1], v[2:3]
	v_add_f64_e32 v[230:231], v[0:1], v[34:35]
	v_mul_f64_e32 v[0:1], s[28:29], v[136:137]
	s_delay_alu instid0(VALU_DEP_3) | instskip(SKIP_2) | instid1(VALU_DEP_4)
	v_add_f64_e32 v[226:227], v[12:13], v[42:43]
	v_add_f64_e32 v[42:43], v[22:23], v[65:66]
	v_mul_f64_e32 v[22:23], s[30:31], v[10:11]
	v_fma_f64 v[2:3], v[8:9], s[26:27], v[0:1]
	v_fma_f64 v[0:1], v[8:9], s[26:27], -v[0:1]
	s_delay_alu instid0(VALU_DEP_3) | instskip(NEXT) | instid1(VALU_DEP_3)
	v_fma_f64 v[28:29], v[134:135], s[36:37], v[22:23]
	v_add_f64_e32 v[232:233], v[2:3], v[40:41]
	v_mul_f64_e32 v[2:3], s[26:27], v[10:11]
	s_delay_alu instid0(VALU_DEP_4)
	v_add_f64_e32 v[236:237], v[0:1], v[38:39]
	v_add_f64_e32 v[40:41], v[20:21], v[63:64]
	v_fma_f64 v[20:21], v[134:135], s[34:35], v[22:23]
	v_mul_f64_e32 v[10:11], s[14:15], v[10:11]
	v_fma_f64 v[12:13], v[134:135], s[24:25], v[2:3]
	v_fma_f64 v[0:1], v[134:135], s[28:29], v[2:3]
	;; [unrolled: 1-line block ×3, first 2 shown]
	v_add_f64_e32 v[38:39], v[20:21], v[126:127]
	v_mul_f64_e32 v[20:21], s[12:13], v[136:137]
	v_add_f64_e32 v[234:235], v[12:13], v[50:51]
	v_mul_f64_e32 v[12:13], s[48:49], v[136:137]
	v_add_f64_e32 v[238:239], v[0:1], v[44:45]
	v_add_f64_e32 v[44:45], v[28:29], v[132:133]
	v_fma_f64 v[22:23], v[8:9], s[14:15], v[20:21]
	v_add_f64_e32 v[2:3], v[2:3], v[59:60]
	v_fma_f64 v[0:1], v[8:9], s[42:43], v[12:13]
	v_fma_f64 v[12:13], v[8:9], s[42:43], -v[12:13]
	s_delay_alu instid0(VALU_DEP_4) | instskip(SKIP_1) | instid1(VALU_DEP_4)
	v_add_f64_e32 v[30:31], v[22:23], v[128:129]
	v_fma_f64 v[22:23], v[134:135], s[16:17], v[10:11]
	v_add_f64_e32 v[0:1], v[0:1], v[48:49]
	s_delay_alu instid0(VALU_DEP_4) | instskip(SKIP_1) | instid1(VALU_DEP_4)
	v_add_f64_e32 v[244:245], v[12:13], v[46:47]
	v_fma_f64 v[12:13], v[134:135], s[48:49], v[14:15]
	v_add_f64_e32 v[36:37], v[22:23], v[130:131]
	s_delay_alu instid0(VALU_DEP_2) | instskip(SKIP_1) | instid1(VALU_DEP_1)
	v_add_f64_e32 v[18:19], v[12:13], v[52:53]
	v_mul_f64_e32 v[12:13], s[50:51], v[136:137]
	v_fma_f64 v[14:15], v[8:9], s[52:53], v[12:13]
	v_fma_f64 v[12:13], v[8:9], s[52:53], -v[12:13]
	v_fma_f64 v[8:9], v[8:9], s[14:15], -v[20:21]
	s_delay_alu instid0(VALU_DEP_3) | instskip(SKIP_1) | instid1(VALU_DEP_3)
	v_add_f64_e32 v[248:249], v[14:15], v[57:58]
	v_fma_f64 v[14:15], v[134:135], s[54:55], v[16:17]
	v_add_f64_e32 v[34:35], v[8:9], v[4:5]
	v_fma_f64 v[4:5], v[134:135], s[12:13], v[10:11]
	v_add_f64_e64 v[10:11], v[202:203], -v[206:207]
	v_add_f64_e32 v[8:9], v[202:203], v[206:207]
	v_add_f64_e32 v[12:13], v[12:13], v[54:55]
	v_fma_f64 v[16:17], v[134:135], s[50:51], v[16:17]
	v_add_f64_e32 v[14:15], v[14:15], v[124:125]
	v_add_f64_e32 v[32:33], v[4:5], v[6:7]
	;; [unrolled: 1-line block ×3, first 2 shown]
	v_mul_f64_e32 v[20:21], s[50:51], v[10:11]
	v_add_f64_e64 v[4:5], v[200:201], -v[204:205]
	v_add_f64_e32 v[16:17], v[16:17], v[61:62]
	s_delay_alu instid0(VALU_DEP_3) | instskip(SKIP_1) | instid1(VALU_DEP_2)
	v_fma_f64 v[22:23], v[6:7], s[52:53], v[20:21]
	v_fma_f64 v[20:21], v[6:7], s[52:53], -v[20:21]
	v_add_f64_e32 v[204:205], v[22:23], v[208:209]
	v_mul_f64_e32 v[22:23], s[52:53], v[8:9]
	s_delay_alu instid0(VALU_DEP_3) | instskip(NEXT) | instid1(VALU_DEP_2)
	v_add_f64_e32 v[200:201], v[20:21], v[212:213]
	v_fma_f64 v[20:21], v[4:5], s[50:51], v[22:23]
	v_fma_f64 v[28:29], v[4:5], s[54:55], v[22:23]
	s_delay_alu instid0(VALU_DEP_2) | instskip(SKIP_1) | instid1(VALU_DEP_3)
	v_add_f64_e32 v[202:203], v[20:21], v[214:215]
	v_mul_f64_e32 v[20:21], s[44:45], v[10:11]
	v_add_f64_e32 v[206:207], v[28:29], v[210:211]
	s_delay_alu instid0(VALU_DEP_2) | instskip(SKIP_1) | instid1(VALU_DEP_2)
	v_fma_f64 v[22:23], v[6:7], s[42:43], v[20:21]
	v_fma_f64 v[20:21], v[6:7], s[42:43], -v[20:21]
	v_add_f64_e32 v[212:213], v[22:23], v[216:217]
	v_mul_f64_e32 v[22:23], s[42:43], v[8:9]
	s_delay_alu instid0(VALU_DEP_3) | instskip(NEXT) | instid1(VALU_DEP_2)
	v_add_f64_e32 v[208:209], v[20:21], v[220:221]
	v_fma_f64 v[20:21], v[4:5], s[44:45], v[22:23]
	v_fma_f64 v[28:29], v[4:5], s[48:49], v[22:23]
	s_delay_alu instid0(VALU_DEP_2) | instskip(SKIP_1) | instid1(VALU_DEP_3)
	v_add_f64_e32 v[210:211], v[20:21], v[222:223]
	v_mul_f64_e32 v[20:21], s[38:39], v[10:11]
	v_add_f64_e32 v[214:215], v[28:29], v[218:219]
	s_delay_alu instid0(VALU_DEP_2) | instskip(SKIP_1) | instid1(VALU_DEP_2)
	;; [unrolled: 13-line block ×3, first 2 shown]
	v_fma_f64 v[22:23], v[6:7], s[30:31], v[20:21]
	v_fma_f64 v[20:21], v[6:7], s[30:31], -v[20:21]
	v_add_f64_e32 v[228:229], v[22:23], v[232:233]
	v_mul_f64_e32 v[22:23], s[30:31], v[8:9]
	s_delay_alu instid0(VALU_DEP_3) | instskip(NEXT) | instid1(VALU_DEP_2)
	v_add_f64_e32 v[224:225], v[20:21], v[236:237]
	v_fma_f64 v[20:21], v[4:5], s[34:35], v[22:23]
	v_fma_f64 v[28:29], v[4:5], s[36:37], v[22:23]
	s_delay_alu instid0(VALU_DEP_2) | instskip(SKIP_1) | instid1(VALU_DEP_3)
	v_add_f64_e32 v[226:227], v[20:21], v[238:239]
	v_mul_f64_e32 v[20:21], s[24:25], v[10:11]
	v_add_f64_e32 v[230:231], v[28:29], v[234:235]
	s_delay_alu instid0(VALU_DEP_2) | instskip(NEXT) | instid1(VALU_DEP_1)
	v_fma_f64 v[22:23], v[6:7], s[26:27], v[20:21]
	v_add_f64_e32 v[236:237], v[22:23], v[0:1]
	v_mul_f64_e32 v[0:1], s[26:27], v[8:9]
	s_delay_alu instid0(VALU_DEP_1) | instskip(SKIP_1) | instid1(VALU_DEP_2)
	v_fma_f64 v[22:23], v[4:5], s[28:29], v[0:1]
	v_fma_f64 v[0:1], v[4:5], s[24:25], v[0:1]
	v_add_f64_e32 v[238:239], v[22:23], v[2:3]
	v_fma_f64 v[2:3], v[6:7], s[26:27], -v[20:21]
	v_mul_f64_e32 v[20:21], s[18:19], v[8:9]
	s_delay_alu instid0(VALU_DEP_4)
	v_add_f64_e32 v[234:235], v[0:1], v[18:19]
	v_mul_f64_e32 v[18:19], s[20:21], v[10:11]
	v_mul_f64_e32 v[22:23], s[14:15], v[8:9]
	;; [unrolled: 1-line block ×3, first 2 shown]
	v_add_f64_e32 v[232:233], v[2:3], v[244:245]
	v_fma_f64 v[2:3], v[4:5], s[22:23], v[20:21]
	v_fma_f64 v[0:1], v[6:7], s[18:19], v[18:19]
	s_delay_alu instid0(VALU_DEP_2) | instskip(SKIP_4) | instid1(VALU_DEP_4)
	v_add_f64_e32 v[2:3], v[2:3], v[14:15]
	v_fma_f64 v[14:15], v[6:7], s[18:19], -v[18:19]
	v_fma_f64 v[18:19], v[4:5], s[16:17], v[22:23]
	v_fma_f64 v[22:23], v[4:5], s[12:13], v[22:23]
	v_add_f64_e32 v[0:1], v[0:1], v[248:249]
	v_add_f64_e32 v[12:13], v[14:15], v[12:13]
	v_fma_f64 v[14:15], v[4:5], s[20:21], v[20:21]
	v_mul_f64_e32 v[20:21], s[12:13], v[10:11]
	v_mul_f64_e32 v[10:11], s[0:1], v[10:11]
	v_add_f64_e32 v[18:19], v[18:19], v[44:45]
	v_add_f64_e32 v[22:23], v[22:23], v[38:39]
	;; [unrolled: 1-line block ×3, first 2 shown]
	v_fma_f64 v[16:17], v[6:7], s[14:15], v[20:21]
	v_fma_f64 v[28:29], v[6:7], s[8:9], v[10:11]
	v_fma_f64 v[20:21], v[6:7], s[14:15], -v[20:21]
	v_fma_f64 v[6:7], v[6:7], s[8:9], -v[10:11]
	s_delay_alu instid0(VALU_DEP_4) | instskip(NEXT) | instid1(VALU_DEP_4)
	v_add_f64_e32 v[16:17], v[16:17], v[42:43]
	v_add_f64_e32 v[28:29], v[28:29], v[30:31]
	v_fma_f64 v[30:31], v[4:5], s[10:11], v[8:9]
	v_fma_f64 v[4:5], v[4:5], s[0:1], v[8:9]
	v_add_f64_e32 v[6:7], v[6:7], v[34:35]
	v_add_f64_e32 v[20:21], v[20:21], v[40:41]
	s_delay_alu instid0(VALU_DEP_4) | instskip(NEXT) | instid1(VALU_DEP_4)
	v_add_f64_e32 v[30:31], v[30:31], v[36:37]
	v_add_f64_e32 v[8:9], v[4:5], v[32:33]
	ds_store_b128 v247, v[196:199]
	ds_store_b128 v247, v[204:207] offset:16
	ds_store_b128 v247, v[212:215] offset:32
	;; [unrolled: 1-line block ×16, first 2 shown]
	global_wb scope:SCOPE_SE
	s_wait_dscnt 0x0
	s_barrier_signal -1
	s_barrier_wait -1
	global_inv scope:SCOPE_SE
	ds_load_b128 v[196:199], v246
	ds_load_b128 v[0:3], v246 offset:1632
	ds_load_b128 v[4:7], v246 offset:3264
	;; [unrolled: 1-line block ×16, first 2 shown]
	scratch_load_b128 v[18:21], off, off offset:284 th:TH_LOAD_LU ; 16-byte Folded Reload
	s_wait_dscnt 0x3
	v_mul_f64_e32 v[22:23], v[186:187], v[210:211]
	s_wait_dscnt 0x2
	v_mul_f64_e32 v[34:35], v[190:191], v[214:215]
	;; [unrolled: 2-line block ×3, first 2 shown]
	s_delay_alu instid0(VALU_DEP_3) | instskip(SKIP_1) | instid1(VALU_DEP_4)
	v_fma_f64 v[30:31], v[184:185], v[208:209], v[22:23]
	v_mul_f64_e32 v[22:23], v[186:187], v[208:209]
	v_fma_f64 v[38:39], v[188:189], v[212:213], v[34:35]
	v_mul_f64_e32 v[34:35], v[190:191], v[212:213]
	s_delay_alu instid0(VALU_DEP_3) | instskip(NEXT) | instid1(VALU_DEP_2)
	v_fma_f64 v[22:23], v[184:185], v[210:211], -v[22:23]
	v_fma_f64 v[34:35], v[188:189], v[214:215], -v[34:35]
	s_wait_loadcnt 0x0
	v_mul_f64_e32 v[16:17], v[20:21], v[2:3]
	s_delay_alu instid0(VALU_DEP_1) | instskip(SKIP_1) | instid1(VALU_DEP_1)
	v_fma_f64 v[54:55], v[18:19], v[0:1], v[16:17]
	v_mul_f64_e32 v[0:1], v[20:21], v[0:1]
	v_fma_f64 v[65:66], v[18:19], v[2:3], -v[0:1]
	scratch_load_b128 v[16:19], off, off offset:300 th:TH_LOAD_LU ; 16-byte Folded Reload
	s_wait_loadcnt 0x0
	v_mul_f64_e32 v[0:1], v[18:19], v[6:7]
	s_delay_alu instid0(VALU_DEP_1) | instskip(SKIP_4) | instid1(VALU_DEP_1)
	v_fma_f64 v[44:45], v[16:17], v[4:5], v[0:1]
	v_mul_f64_e32 v[0:1], v[18:19], v[4:5]
	scratch_load_b128 v[2:5], off, off offset:316 th:TH_LOAD_LU ; 16-byte Folded Reload
	v_fma_f64 v[40:41], v[16:17], v[6:7], -v[0:1]
	v_mul_f64_e32 v[6:7], v[166:167], v[128:129]
	v_fma_f64 v[142:143], v[164:165], v[130:131], -v[6:7]
	v_mul_f64_e32 v[6:7], v[170:171], v[202:203]
	s_wait_loadcnt 0x0
	v_mul_f64_e32 v[0:1], v[4:5], v[10:11]
	s_delay_alu instid0(VALU_DEP_1) | instskip(SKIP_1) | instid1(VALU_DEP_1)
	v_fma_f64 v[36:37], v[2:3], v[8:9], v[0:1]
	v_mul_f64_e32 v[0:1], v[4:5], v[8:9]
	v_fma_f64 v[32:33], v[2:3], v[10:11], -v[0:1]
	scratch_load_b128 v[2:5], off, off offset:332 th:TH_LOAD_LU ; 16-byte Folded Reload
	v_fma_f64 v[10:11], v[168:169], v[200:201], v[6:7]
	v_mul_f64_e32 v[6:7], v[170:171], v[200:201]
	s_delay_alu instid0(VALU_DEP_1) | instskip(SKIP_2) | instid1(VALU_DEP_1)
	v_fma_f64 v[6:7], v[168:169], v[202:203], -v[6:7]
	s_wait_loadcnt 0x0
	v_mul_f64_e32 v[0:1], v[4:5], v[14:15]
	v_fma_f64 v[28:29], v[2:3], v[12:13], v[0:1]
	v_mul_f64_e32 v[0:1], v[4:5], v[12:13]
	s_delay_alu instid0(VALU_DEP_1)
	v_fma_f64 v[20:21], v[2:3], v[14:15], -v[0:1]
	scratch_load_b128 v[2:5], off, off offset:348 th:TH_LOAD_LU ; 16-byte Folded Reload
	v_mul_f64_e32 v[14:15], v[174:175], v[206:207]
	global_wb scope:SCOPE_SE
	s_wait_loadcnt_dscnt 0x0
	s_barrier_signal -1
	s_barrier_wait -1
	global_inv scope:SCOPE_SE
	v_fma_f64 v[18:19], v[172:173], v[204:205], v[14:15]
	v_mul_f64_e32 v[14:15], v[174:175], v[204:205]
	s_delay_alu instid0(VALU_DEP_1) | instskip(SKIP_1) | instid1(VALU_DEP_1)
	v_fma_f64 v[14:15], v[172:173], v[206:207], -v[14:15]
	v_mul_f64_e32 v[0:1], v[4:5], v[48:49]
	v_fma_f64 v[16:17], v[2:3], v[46:47], v[0:1]
	v_mul_f64_e32 v[0:1], v[4:5], v[46:47]
	v_fma_f64 v[46:47], v[192:193], v[216:217], v[42:43]
	v_mul_f64_e32 v[42:43], v[194:195], v[216:217]
	s_delay_alu instid0(VALU_DEP_3) | instskip(SKIP_2) | instid1(VALU_DEP_4)
	v_fma_f64 v[12:13], v[2:3], v[48:49], -v[0:1]
	v_mul_f64_e32 v[0:1], v[150:151], v[52:53]
	v_mul_f64_e32 v[2:3], v[154:155], v[57:58]
	v_fma_f64 v[42:43], v[192:193], v[218:219], -v[42:43]
	v_mul_f64_e32 v[48:49], v[182:183], v[222:223]
	s_delay_alu instid0(VALU_DEP_4)
	v_fma_f64 v[8:9], v[148:149], v[50:51], v[0:1]
	v_mul_f64_e32 v[0:1], v[150:151], v[50:51]
	v_fma_f64 v[140:141], v[152:153], v[59:60], -v[2:3]
	v_mul_f64_e32 v[2:3], v[158:159], v[63:64]
	v_mul_f64_e32 v[50:51], v[182:183], v[220:221]
	v_fma_f64 v[48:49], v[180:181], v[220:221], v[48:49]
	v_fma_f64 v[4:5], v[148:149], v[52:53], -v[0:1]
	v_mul_f64_e32 v[0:1], v[154:155], v[59:60]
	v_add_f64_e32 v[52:53], v[196:197], v[54:55]
	v_fma_f64 v[136:137], v[156:157], v[61:62], v[2:3]
	v_mul_f64_e32 v[2:3], v[158:159], v[61:62]
	v_fma_f64 v[50:51], v[180:181], v[222:223], -v[50:51]
	v_fma_f64 v[0:1], v[152:153], v[57:58], v[0:1]
	v_add_f64_e32 v[57:58], v[198:199], v[65:66]
	v_add_f64_e32 v[52:53], v[52:53], v[44:45]
	v_fma_f64 v[132:133], v[156:157], v[63:64], -v[2:3]
	v_mul_f64_e32 v[2:3], v[162:163], v[126:127]
	s_delay_alu instid0(VALU_DEP_4) | instskip(NEXT) | instid1(VALU_DEP_4)
	v_add_f64_e32 v[57:58], v[57:58], v[40:41]
	v_add_f64_e32 v[52:53], v[52:53], v[36:37]
	s_delay_alu instid0(VALU_DEP_3) | instskip(SKIP_1) | instid1(VALU_DEP_4)
	v_fma_f64 v[138:139], v[160:161], v[124:125], v[2:3]
	v_mul_f64_e32 v[2:3], v[162:163], v[124:125]
	v_add_f64_e32 v[57:58], v[57:58], v[32:33]
	s_delay_alu instid0(VALU_DEP_4) | instskip(NEXT) | instid1(VALU_DEP_3)
	v_add_f64_e32 v[52:53], v[52:53], v[28:29]
	v_fma_f64 v[134:135], v[160:161], v[126:127], -v[2:3]
	v_mul_f64_e32 v[2:3], v[166:167], v[130:131]
	s_delay_alu instid0(VALU_DEP_4) | instskip(NEXT) | instid1(VALU_DEP_4)
	v_add_f64_e32 v[57:58], v[57:58], v[20:21]
	v_add_f64_e32 v[52:53], v[52:53], v[16:17]
	s_delay_alu instid0(VALU_DEP_3) | instskip(NEXT) | instid1(VALU_DEP_3)
	v_fma_f64 v[2:3], v[164:165], v[128:129], v[2:3]
	v_add_f64_e32 v[57:58], v[57:58], v[12:13]
	s_delay_alu instid0(VALU_DEP_3) | instskip(NEXT) | instid1(VALU_DEP_2)
	v_add_f64_e32 v[52:53], v[52:53], v[8:9]
	v_add_f64_e32 v[57:58], v[57:58], v[4:5]
	s_delay_alu instid0(VALU_DEP_2) | instskip(NEXT) | instid1(VALU_DEP_2)
	v_add_f64_e32 v[52:53], v[52:53], v[0:1]
	v_add_f64_e32 v[57:58], v[57:58], v[140:141]
	s_delay_alu instid0(VALU_DEP_2) | instskip(NEXT) | instid1(VALU_DEP_2)
	;; [unrolled: 3-line block ×9, first 2 shown]
	v_add_f64_e32 v[52:53], v[52:53], v[46:47]
	v_add_f64_e32 v[57:58], v[57:58], v[42:43]
	s_delay_alu instid0(VALU_DEP_2) | instskip(SKIP_2) | instid1(VALU_DEP_4)
	v_add_f64_e32 v[128:129], v[52:53], v[48:49]
	v_add_f64_e32 v[52:53], v[54:55], v[48:49]
	v_add_f64_e64 v[48:49], v[54:55], -v[48:49]
	v_add_f64_e32 v[130:131], v[57:58], v[50:51]
	v_add_f64_e32 v[57:58], v[65:66], v[50:51]
	v_add_f64_e64 v[50:51], v[65:66], -v[50:51]
	s_delay_alu instid0(VALU_DEP_2)
	v_mul_f64_e32 v[61:62], s[42:43], v[57:58]
	v_mul_f64_e32 v[126:127], s[30:31], v[57:58]
	;; [unrolled: 1-line block ×16, first 2 shown]
	v_fma_f64 v[63:64], v[48:49], s[44:45], v[61:62]
	v_fma_f64 v[61:62], v[48:49], s[48:49], v[61:62]
	;; [unrolled: 1-line block ×16, first 2 shown]
	v_add_f64_e32 v[57:58], v[40:41], v[42:43]
	v_add_f64_e64 v[40:41], v[40:41], -v[42:43]
	v_fma_f64 v[59:60], v[52:53], s[42:43], v[54:55]
	v_fma_f64 v[54:55], v[52:53], s[42:43], -v[54:55]
	v_fma_f64 v[124:125], v[52:53], s[30:31], v[65:66]
	v_fma_f64 v[65:66], v[52:53], s[30:31], -v[65:66]
	;; [unrolled: 2-line block ×8, first 2 shown]
	v_add_f64_e32 v[52:53], v[44:45], v[46:47]
	v_add_f64_e64 v[44:45], v[44:45], -v[46:47]
	v_add_f64_e32 v[63:64], v[198:199], v[63:64]
	v_add_f64_e32 v[61:62], v[198:199], v[61:62]
	;; [unrolled: 1-line block ×16, first 2 shown]
	v_mul_f64_e32 v[42:43], s[36:37], v[40:41]
	v_add_f64_e32 v[59:60], v[196:197], v[59:60]
	v_add_f64_e32 v[54:55], v[196:197], v[54:55]
	;; [unrolled: 1-line block ×16, first 2 shown]
	v_fma_f64 v[46:47], v[52:53], s[30:31], v[42:43]
	v_fma_f64 v[42:43], v[52:53], s[30:31], -v[42:43]
	s_delay_alu instid0(VALU_DEP_2) | instskip(SKIP_1) | instid1(VALU_DEP_3)
	v_add_f64_e32 v[46:47], v[46:47], v[59:60]
	v_mul_f64_e32 v[59:60], s[30:31], v[57:58]
	v_add_f64_e32 v[42:43], v[42:43], v[54:55]
	s_delay_alu instid0(VALU_DEP_2) | instskip(SKIP_2) | instid1(VALU_DEP_3)
	v_fma_f64 v[194:195], v[44:45], s[34:35], v[59:60]
	v_fma_f64 v[54:55], v[44:45], s[36:37], v[59:60]
	v_mul_f64_e32 v[59:60], s[10:11], v[40:41]
	v_add_f64_e32 v[63:64], v[194:195], v[63:64]
	s_delay_alu instid0(VALU_DEP_3) | instskip(NEXT) | instid1(VALU_DEP_3)
	v_add_f64_e32 v[54:55], v[54:55], v[61:62]
	v_fma_f64 v[61:62], v[52:53], s[8:9], v[59:60]
	v_fma_f64 v[59:60], v[52:53], s[8:9], -v[59:60]
	s_delay_alu instid0(VALU_DEP_2) | instskip(SKIP_1) | instid1(VALU_DEP_3)
	v_add_f64_e32 v[61:62], v[61:62], v[124:125]
	v_mul_f64_e32 v[124:125], s[8:9], v[57:58]
	v_add_f64_e32 v[59:60], v[59:60], v[65:66]
	s_delay_alu instid0(VALU_DEP_2) | instskip(SKIP_2) | instid1(VALU_DEP_3)
	v_fma_f64 v[194:195], v[44:45], s[0:1], v[124:125]
	v_fma_f64 v[65:66], v[44:45], s[10:11], v[124:125]
	v_mul_f64_e32 v[124:125], s[24:25], v[40:41]
	v_add_f64_e32 v[144:145], v[194:195], v[144:145]
	s_delay_alu instid0(VALU_DEP_3) | instskip(NEXT) | instid1(VALU_DEP_3)
	v_add_f64_e32 v[65:66], v[65:66], v[126:127]
	;; [unrolled: 13-line block ×5, first 2 shown]
	v_fma_f64 v[166:167], v[52:53], s[14:15], v[164:165]
	v_fma_f64 v[164:165], v[52:53], s[14:15], -v[164:165]
	s_delay_alu instid0(VALU_DEP_2) | instskip(SKIP_1) | instid1(VALU_DEP_3)
	v_add_f64_e32 v[166:167], v[166:167], v[172:173]
	v_mul_f64_e32 v[172:173], s[14:15], v[57:58]
	v_add_f64_e32 v[164:165], v[164:165], v[170:171]
	s_delay_alu instid0(VALU_DEP_2) | instskip(SKIP_3) | instid1(VALU_DEP_4)
	v_fma_f64 v[194:195], v[44:45], s[12:13], v[172:173]
	v_fma_f64 v[170:171], v[44:45], s[16:17], v[172:173]
	v_mul_f64_e32 v[172:173], s[20:21], v[40:41]
	v_mul_f64_e32 v[40:41], s[44:45], v[40:41]
	v_add_f64_e32 v[180:181], v[194:195], v[180:181]
	s_delay_alu instid0(VALU_DEP_4) | instskip(NEXT) | instid1(VALU_DEP_4)
	v_add_f64_e32 v[170:171], v[170:171], v[174:175]
	v_fma_f64 v[174:175], v[52:53], s[18:19], v[172:173]
	v_fma_f64 v[172:173], v[52:53], s[18:19], -v[172:173]
	s_delay_alu instid0(VALU_DEP_2) | instskip(SKIP_1) | instid1(VALU_DEP_3)
	v_add_f64_e32 v[174:175], v[174:175], v[184:185]
	v_mul_f64_e32 v[184:185], s[18:19], v[57:58]
	v_add_f64_e32 v[172:173], v[172:173], v[182:183]
	v_mul_f64_e32 v[57:58], s[42:43], v[57:58]
	s_delay_alu instid0(VALU_DEP_3) | instskip(SKIP_3) | instid1(VALU_DEP_4)
	v_fma_f64 v[194:195], v[44:45], s[22:23], v[184:185]
	v_fma_f64 v[182:183], v[44:45], s[20:21], v[184:185]
	;; [unrolled: 1-line block ×3, first 2 shown]
	v_fma_f64 v[40:41], v[52:53], s[42:43], -v[40:41]
	v_add_f64_e32 v[188:189], v[194:195], v[188:189]
	s_delay_alu instid0(VALU_DEP_4) | instskip(SKIP_1) | instid1(VALU_DEP_4)
	v_add_f64_e32 v[182:183], v[182:183], v[186:187]
	v_fma_f64 v[186:187], v[44:45], s[48:49], v[57:58]
	v_add_f64_e32 v[40:41], v[40:41], v[50:51]
	v_fma_f64 v[44:45], v[44:45], s[44:45], v[57:58]
	v_add_f64_e32 v[50:51], v[32:33], v[34:35]
	v_add_f64_e64 v[32:33], v[32:33], -v[34:35]
	v_add_f64_e32 v[184:185], v[184:185], v[190:191]
	v_add_f64_e32 v[186:187], v[186:187], v[192:193]
	;; [unrolled: 1-line block ×4, first 2 shown]
	v_mul_f64_e32 v[34:35], s[22:23], v[32:33]
	v_add_f64_e64 v[36:37], v[36:37], -v[38:39]
	v_mul_f64_e32 v[57:58], s[26:27], v[50:51]
	s_delay_alu instid0(VALU_DEP_3) | instskip(SKIP_1) | instid1(VALU_DEP_2)
	v_fma_f64 v[38:39], v[48:49], s[18:19], v[34:35]
	v_fma_f64 v[34:35], v[48:49], s[18:19], -v[34:35]
	v_add_f64_e32 v[38:39], v[38:39], v[46:47]
	v_mul_f64_e32 v[46:47], s[18:19], v[50:51]
	s_delay_alu instid0(VALU_DEP_3) | instskip(NEXT) | instid1(VALU_DEP_2)
	v_add_f64_e32 v[34:35], v[34:35], v[42:43]
	v_fma_f64 v[52:53], v[36:37], s[20:21], v[46:47]
	v_fma_f64 v[42:43], v[36:37], s[22:23], v[46:47]
	v_mul_f64_e32 v[46:47], s[24:25], v[32:33]
	s_delay_alu instid0(VALU_DEP_3) | instskip(NEXT) | instid1(VALU_DEP_3)
	v_add_f64_e32 v[52:53], v[52:53], v[63:64]
	v_add_f64_e32 v[42:43], v[42:43], v[54:55]
	s_delay_alu instid0(VALU_DEP_3) | instskip(SKIP_1) | instid1(VALU_DEP_2)
	v_fma_f64 v[54:55], v[48:49], s[26:27], v[46:47]
	v_fma_f64 v[46:47], v[48:49], s[26:27], -v[46:47]
	v_add_f64_e32 v[54:55], v[54:55], v[61:62]
	v_fma_f64 v[61:62], v[36:37], s[28:29], v[57:58]
	s_delay_alu instid0(VALU_DEP_3) | instskip(SKIP_2) | instid1(VALU_DEP_4)
	v_add_f64_e32 v[46:47], v[46:47], v[59:60]
	v_fma_f64 v[57:58], v[36:37], s[24:25], v[57:58]
	v_mul_f64_e32 v[59:60], s[54:55], v[32:33]
	v_add_f64_e32 v[61:62], v[61:62], v[144:145]
	s_delay_alu instid0(VALU_DEP_3) | instskip(NEXT) | instid1(VALU_DEP_3)
	v_add_f64_e32 v[57:58], v[57:58], v[65:66]
	v_fma_f64 v[63:64], v[48:49], s[52:53], v[59:60]
	v_mul_f64_e32 v[65:66], s[52:53], v[50:51]
	v_fma_f64 v[59:60], v[48:49], s[52:53], -v[59:60]
	s_delay_alu instid0(VALU_DEP_3) | instskip(NEXT) | instid1(VALU_DEP_3)
	v_add_f64_e32 v[63:64], v[63:64], v[126:127]
	v_fma_f64 v[126:127], v[36:37], s[50:51], v[65:66]
	s_delay_alu instid0(VALU_DEP_3) | instskip(SKIP_2) | instid1(VALU_DEP_4)
	v_add_f64_e32 v[59:60], v[59:60], v[124:125]
	v_fma_f64 v[65:66], v[36:37], s[54:55], v[65:66]
	v_mul_f64_e32 v[124:125], s[16:17], v[32:33]
	v_add_f64_e32 v[126:127], v[126:127], v[152:153]
	s_delay_alu instid0(VALU_DEP_3) | instskip(NEXT) | instid1(VALU_DEP_3)
	v_add_f64_e32 v[65:66], v[65:66], v[146:147]
	v_fma_f64 v[144:145], v[48:49], s[14:15], v[124:125]
	v_mul_f64_e32 v[146:147], s[14:15], v[50:51]
	v_fma_f64 v[124:125], v[48:49], s[14:15], -v[124:125]
	s_delay_alu instid0(VALU_DEP_3) | instskip(NEXT) | instid1(VALU_DEP_3)
	;; [unrolled: 13-line block ×4, first 2 shown]
	v_add_f64_e32 v[160:161], v[160:161], v[166:167]
	v_fma_f64 v[166:167], v[36:37], s[44:45], v[162:163]
	s_delay_alu instid0(VALU_DEP_3) | instskip(SKIP_4) | instid1(VALU_DEP_4)
	v_add_f64_e32 v[156:157], v[156:157], v[164:165]
	v_fma_f64 v[162:163], v[36:37], s[48:49], v[162:163]
	v_mul_f64_e32 v[164:165], s[10:11], v[32:33]
	v_mul_f64_e32 v[32:33], s[38:39], v[32:33]
	v_add_f64_e32 v[166:167], v[166:167], v[180:181]
	v_add_f64_e32 v[162:163], v[162:163], v[170:171]
	s_delay_alu instid0(VALU_DEP_4) | instskip(SKIP_3) | instid1(VALU_DEP_4)
	v_fma_f64 v[168:169], v[48:49], s[8:9], v[164:165]
	v_mul_f64_e32 v[170:171], s[8:9], v[50:51]
	v_mul_f64_e32 v[50:51], s[40:41], v[50:51]
	v_fma_f64 v[164:165], v[48:49], s[8:9], -v[164:165]
	v_add_f64_e32 v[168:169], v[168:169], v[174:175]
	s_delay_alu instid0(VALU_DEP_4)
	v_fma_f64 v[174:175], v[36:37], s[0:1], v[170:171]
	v_fma_f64 v[170:171], v[36:37], s[10:11], v[170:171]
	;; [unrolled: 1-line block ×4, first 2 shown]
	v_add_f64_e32 v[164:165], v[164:165], v[172:173]
	v_fma_f64 v[172:173], v[48:49], s[40:41], v[32:33]
	v_fma_f64 v[32:33], v[48:49], s[40:41], -v[32:33]
	v_add_f64_e32 v[174:175], v[174:175], v[188:189]
	v_add_f64_e32 v[170:171], v[170:171], v[182:183]
	;; [unrolled: 1-line block ×5, first 2 shown]
	v_add_f64_e64 v[20:21], v[20:21], -v[22:23]
	v_add_f64_e32 v[32:33], v[32:33], v[40:41]
	v_add_f64_e32 v[40:41], v[28:29], v[30:31]
	v_add_f64_e64 v[28:29], v[28:29], -v[30:31]
	v_add_f64_e32 v[172:173], v[172:173], v[184:185]
	v_mul_f64_e32 v[50:51], s[52:53], v[44:45]
	v_mul_f64_e32 v[22:23], s[10:11], v[20:21]
	s_delay_alu instid0(VALU_DEP_1) | instskip(SKIP_1) | instid1(VALU_DEP_2)
	v_fma_f64 v[30:31], v[40:41], s[8:9], v[22:23]
	v_fma_f64 v[22:23], v[40:41], s[8:9], -v[22:23]
	v_add_f64_e32 v[30:31], v[30:31], v[38:39]
	v_mul_f64_e32 v[38:39], s[8:9], v[44:45]
	s_delay_alu instid0(VALU_DEP_3) | instskip(NEXT) | instid1(VALU_DEP_2)
	v_add_f64_e32 v[22:23], v[22:23], v[34:35]
	v_fma_f64 v[48:49], v[28:29], s[0:1], v[38:39]
	v_fma_f64 v[34:35], v[28:29], s[10:11], v[38:39]
	v_mul_f64_e32 v[38:39], s[50:51], v[20:21]
	s_delay_alu instid0(VALU_DEP_3) | instskip(NEXT) | instid1(VALU_DEP_3)
	v_add_f64_e32 v[48:49], v[48:49], v[52:53]
	v_add_f64_e32 v[34:35], v[34:35], v[42:43]
	s_delay_alu instid0(VALU_DEP_3) | instskip(SKIP_2) | instid1(VALU_DEP_3)
	v_fma_f64 v[42:43], v[40:41], s[52:53], v[38:39]
	v_fma_f64 v[38:39], v[40:41], s[52:53], -v[38:39]
	v_fma_f64 v[52:53], v[28:29], s[54:55], v[50:51]
	v_add_f64_e32 v[42:43], v[42:43], v[54:55]
	s_delay_alu instid0(VALU_DEP_3) | instskip(SKIP_3) | instid1(VALU_DEP_3)
	v_add_f64_e32 v[38:39], v[38:39], v[46:47]
	v_fma_f64 v[46:47], v[28:29], s[50:51], v[50:51]
	v_mul_f64_e32 v[50:51], s[16:17], v[20:21]
	v_add_f64_e32 v[52:53], v[52:53], v[61:62]
	v_add_f64_e32 v[46:47], v[46:47], v[57:58]
	s_delay_alu instid0(VALU_DEP_3) | instskip(SKIP_2) | instid1(VALU_DEP_3)
	v_fma_f64 v[54:55], v[40:41], s[14:15], v[50:51]
	v_mul_f64_e32 v[57:58], s[14:15], v[44:45]
	v_fma_f64 v[50:51], v[40:41], s[14:15], -v[50:51]
	v_add_f64_e32 v[54:55], v[54:55], v[63:64]
	s_delay_alu instid0(VALU_DEP_3) | instskip(NEXT) | instid1(VALU_DEP_3)
	v_fma_f64 v[61:62], v[28:29], s[12:13], v[57:58]
	v_add_f64_e32 v[50:51], v[50:51], v[59:60]
	v_fma_f64 v[57:58], v[28:29], s[16:17], v[57:58]
	v_mul_f64_e32 v[59:60], s[44:45], v[20:21]
	s_delay_alu instid0(VALU_DEP_4) | instskip(NEXT) | instid1(VALU_DEP_3)
	v_add_f64_e32 v[61:62], v[61:62], v[126:127]
	v_add_f64_e32 v[57:58], v[57:58], v[65:66]
	s_delay_alu instid0(VALU_DEP_3) | instskip(SKIP_2) | instid1(VALU_DEP_3)
	v_fma_f64 v[63:64], v[40:41], s[42:43], v[59:60]
	v_mul_f64_e32 v[65:66], s[42:43], v[44:45]
	v_fma_f64 v[59:60], v[40:41], s[42:43], -v[59:60]
	v_add_f64_e32 v[63:64], v[63:64], v[144:145]
	s_delay_alu instid0(VALU_DEP_3) | instskip(NEXT) | instid1(VALU_DEP_3)
	v_fma_f64 v[126:127], v[28:29], s[48:49], v[65:66]
	v_add_f64_e32 v[59:60], v[59:60], v[124:125]
	v_fma_f64 v[65:66], v[28:29], s[44:45], v[65:66]
	v_mul_f64_e32 v[124:125], s[22:23], v[20:21]
	s_delay_alu instid0(VALU_DEP_4) | instskip(NEXT) | instid1(VALU_DEP_3)
	;; [unrolled: 13-line block ×3, first 2 shown]
	v_add_f64_e32 v[150:151], v[150:151], v[158:159]
	v_add_f64_e32 v[146:147], v[146:147], v[154:155]
	s_delay_alu instid0(VALU_DEP_3) | instskip(SKIP_2) | instid1(VALU_DEP_3)
	v_fma_f64 v[152:153], v[40:41], s[40:41], v[148:149]
	v_mul_f64_e32 v[154:155], s[40:41], v[44:45]
	v_fma_f64 v[148:149], v[40:41], s[40:41], -v[148:149]
	v_add_f64_e32 v[152:153], v[152:153], v[160:161]
	s_delay_alu instid0(VALU_DEP_3) | instskip(NEXT) | instid1(VALU_DEP_3)
	v_fma_f64 v[158:159], v[28:29], s[46:47], v[154:155]
	v_add_f64_e32 v[148:149], v[148:149], v[156:157]
	v_fma_f64 v[154:155], v[28:29], s[38:39], v[154:155]
	v_mul_f64_e32 v[156:157], s[28:29], v[20:21]
	v_mul_f64_e32 v[20:21], s[34:35], v[20:21]
	v_add_f64_e32 v[158:159], v[158:159], v[166:167]
	s_delay_alu instid0(VALU_DEP_4) | instskip(NEXT) | instid1(VALU_DEP_4)
	v_add_f64_e32 v[154:155], v[154:155], v[162:163]
	v_fma_f64 v[160:161], v[40:41], s[26:27], v[156:157]
	v_mul_f64_e32 v[162:163], s[26:27], v[44:45]
	v_mul_f64_e32 v[44:45], s[30:31], v[44:45]
	v_fma_f64 v[156:157], v[40:41], s[26:27], -v[156:157]
	s_delay_alu instid0(VALU_DEP_4) | instskip(NEXT) | instid1(VALU_DEP_4)
	v_add_f64_e32 v[160:161], v[160:161], v[168:169]
	v_fma_f64 v[166:167], v[28:29], s[24:25], v[162:163]
	v_fma_f64 v[162:163], v[28:29], s[28:29], v[162:163]
	;; [unrolled: 1-line block ×4, first 2 shown]
	v_add_f64_e32 v[156:157], v[156:157], v[164:165]
	v_fma_f64 v[164:165], v[40:41], s[30:31], v[20:21]
	v_fma_f64 v[20:21], v[40:41], s[30:31], -v[20:21]
	v_add_f64_e32 v[166:167], v[166:167], v[174:175]
	v_add_f64_e32 v[162:163], v[162:163], v[170:171]
	;; [unrolled: 1-line block ×5, first 2 shown]
	v_add_f64_e64 v[12:13], v[12:13], -v[14:15]
	v_add_f64_e32 v[20:21], v[20:21], v[32:33]
	v_add_f64_e32 v[32:33], v[16:17], v[18:19]
	v_add_f64_e64 v[16:17], v[16:17], -v[18:19]
	v_add_f64_e32 v[164:165], v[164:165], v[172:173]
	v_mul_f64_e32 v[14:15], s[12:13], v[12:13]
	s_delay_alu instid0(VALU_DEP_1) | instskip(SKIP_1) | instid1(VALU_DEP_2)
	v_fma_f64 v[18:19], v[32:33], s[14:15], v[14:15]
	v_fma_f64 v[14:15], v[32:33], s[14:15], -v[14:15]
	v_add_f64_e32 v[18:19], v[18:19], v[30:31]
	v_mul_f64_e32 v[30:31], s[14:15], v[36:37]
	s_delay_alu instid0(VALU_DEP_3) | instskip(NEXT) | instid1(VALU_DEP_2)
	v_add_f64_e32 v[14:15], v[14:15], v[22:23]
	v_fma_f64 v[40:41], v[16:17], s[16:17], v[30:31]
	v_fma_f64 v[22:23], v[16:17], s[12:13], v[30:31]
	v_mul_f64_e32 v[30:31], s[46:47], v[12:13]
	s_delay_alu instid0(VALU_DEP_3) | instskip(NEXT) | instid1(VALU_DEP_3)
	v_add_f64_e32 v[40:41], v[40:41], v[48:49]
	v_add_f64_e32 v[22:23], v[22:23], v[34:35]
	s_delay_alu instid0(VALU_DEP_3) | instskip(SKIP_2) | instid1(VALU_DEP_3)
	v_fma_f64 v[34:35], v[32:33], s[40:41], v[30:31]
	v_fma_f64 v[30:31], v[32:33], s[40:41], -v[30:31]
	v_mul_f64_e32 v[48:49], s[30:31], v[36:37]
	v_add_f64_e32 v[34:35], v[34:35], v[42:43]
	v_mul_f64_e32 v[42:43], s[40:41], v[36:37]
	s_delay_alu instid0(VALU_DEP_4) | instskip(NEXT) | instid1(VALU_DEP_2)
	v_add_f64_e32 v[30:31], v[30:31], v[38:39]
	v_fma_f64 v[44:45], v[16:17], s[38:39], v[42:43]
	v_fma_f64 v[38:39], v[16:17], s[46:47], v[42:43]
	v_mul_f64_e32 v[42:43], s[34:35], v[12:13]
	s_delay_alu instid0(VALU_DEP_3) | instskip(NEXT) | instid1(VALU_DEP_3)
	v_add_f64_e32 v[44:45], v[44:45], v[52:53]
	v_add_f64_e32 v[38:39], v[38:39], v[46:47]
	s_delay_alu instid0(VALU_DEP_3) | instskip(SKIP_3) | instid1(VALU_DEP_4)
	v_fma_f64 v[46:47], v[32:33], s[30:31], v[42:43]
	v_fma_f64 v[42:43], v[32:33], s[30:31], -v[42:43]
	v_fma_f64 v[52:53], v[16:17], s[36:37], v[48:49]
	v_fma_f64 v[48:49], v[16:17], s[34:35], v[48:49]
	v_add_f64_e32 v[46:47], v[46:47], v[54:55]
	s_delay_alu instid0(VALU_DEP_4) | instskip(SKIP_1) | instid1(VALU_DEP_4)
	v_add_f64_e32 v[42:43], v[42:43], v[50:51]
	v_mul_f64_e32 v[50:51], s[22:23], v[12:13]
	v_add_f64_e32 v[48:49], v[48:49], v[57:58]
	v_mul_f64_e32 v[57:58], s[18:19], v[36:37]
	v_add_f64_e32 v[52:53], v[52:53], v[61:62]
	s_delay_alu instid0(VALU_DEP_4) | instskip(SKIP_1) | instid1(VALU_DEP_4)
	v_fma_f64 v[54:55], v[32:33], s[18:19], v[50:51]
	v_fma_f64 v[50:51], v[32:33], s[18:19], -v[50:51]
	v_fma_f64 v[61:62], v[16:17], s[20:21], v[57:58]
	v_fma_f64 v[57:58], v[16:17], s[22:23], v[57:58]
	s_delay_alu instid0(VALU_DEP_4) | instskip(NEXT) | instid1(VALU_DEP_4)
	v_add_f64_e32 v[54:55], v[54:55], v[63:64]
	v_add_f64_e32 v[50:51], v[50:51], v[59:60]
	v_mul_f64_e32 v[59:60], s[50:51], v[12:13]
	s_delay_alu instid0(VALU_DEP_4) | instskip(SKIP_2) | instid1(VALU_DEP_4)
	v_add_f64_e32 v[57:58], v[57:58], v[65:66]
	v_mul_f64_e32 v[65:66], s[52:53], v[36:37]
	v_add_f64_e32 v[61:62], v[61:62], v[126:127]
	v_fma_f64 v[63:64], v[32:33], s[52:53], v[59:60]
	v_fma_f64 v[59:60], v[32:33], s[52:53], -v[59:60]
	s_delay_alu instid0(VALU_DEP_4) | instskip(SKIP_1) | instid1(VALU_DEP_4)
	v_fma_f64 v[126:127], v[16:17], s[54:55], v[65:66]
	v_fma_f64 v[65:66], v[16:17], s[50:51], v[65:66]
	v_add_f64_e32 v[63:64], v[63:64], v[144:145]
	s_delay_alu instid0(VALU_DEP_4) | instskip(SKIP_1) | instid1(VALU_DEP_4)
	v_add_f64_e32 v[59:60], v[59:60], v[124:125]
	v_mul_f64_e32 v[124:125], s[0:1], v[12:13]
	v_add_f64_e32 v[65:66], v[65:66], v[146:147]
	v_mul_f64_e32 v[146:147], s[8:9], v[36:37]
	v_add_f64_e32 v[126:127], v[126:127], v[150:151]
	s_delay_alu instid0(VALU_DEP_4) | instskip(SKIP_1) | instid1(VALU_DEP_4)
	v_fma_f64 v[144:145], v[32:33], s[8:9], v[124:125]
	v_fma_f64 v[124:125], v[32:33], s[8:9], -v[124:125]
	v_fma_f64 v[150:151], v[16:17], s[10:11], v[146:147]
	v_fma_f64 v[146:147], v[16:17], s[0:1], v[146:147]
	s_delay_alu instid0(VALU_DEP_4) | instskip(NEXT) | instid1(VALU_DEP_4)
	v_add_f64_e32 v[144:145], v[144:145], v[152:153]
	v_add_f64_e32 v[124:125], v[124:125], v[148:149]
	v_mul_f64_e32 v[148:149], s[48:49], v[12:13]
	s_delay_alu instid0(VALU_DEP_4)
	v_add_f64_e32 v[146:147], v[146:147], v[154:155]
	v_mul_f64_e32 v[154:155], s[42:43], v[36:37]
	v_mul_f64_e32 v[36:37], s[26:27], v[36:37]
	v_add_f64_e32 v[150:151], v[150:151], v[158:159]
	v_mul_f64_e32 v[12:13], s[24:25], v[12:13]
	v_fma_f64 v[152:153], v[32:33], s[42:43], v[148:149]
	v_fma_f64 v[148:149], v[32:33], s[42:43], -v[148:149]
	v_fma_f64 v[158:159], v[16:17], s[44:45], v[154:155]
	v_fma_f64 v[154:155], v[16:17], s[48:49], v[154:155]
	s_delay_alu instid0(VALU_DEP_4)
	v_add_f64_e32 v[152:153], v[152:153], v[160:161]
	v_fma_f64 v[160:161], v[16:17], s[28:29], v[36:37]
	v_fma_f64 v[16:17], v[16:17], s[24:25], v[36:37]
	v_add_f64_e32 v[148:149], v[148:149], v[156:157]
	v_fma_f64 v[156:157], v[32:33], s[26:27], v[12:13]
	v_fma_f64 v[12:13], v[32:33], s[26:27], -v[12:13]
	v_add_f64_e32 v[154:155], v[154:155], v[162:163]
	v_add_f64_e32 v[162:163], v[0:1], v[2:3]
	v_add_f64_e64 v[0:1], v[0:1], -v[2:3]
	v_add_f64_e64 v[2:3], v[140:141], -v[142:143]
	v_add_f64_e32 v[158:159], v[158:159], v[166:167]
	v_add_f64_e32 v[160:161], v[160:161], v[168:169]
	;; [unrolled: 1-line block ×4, first 2 shown]
	v_add_f64_e64 v[4:5], v[4:5], -v[6:7]
	v_add_f64_e32 v[12:13], v[12:13], v[20:21]
	v_add_f64_e32 v[20:21], v[8:9], v[10:11]
	v_add_f64_e64 v[8:9], v[8:9], -v[10:11]
	v_add_f64_e32 v[156:157], v[156:157], v[164:165]
	v_mul_f64_e32 v[6:7], s[24:25], v[4:5]
	s_delay_alu instid0(VALU_DEP_1) | instskip(SKIP_1) | instid1(VALU_DEP_2)
	v_fma_f64 v[10:11], v[20:21], s[26:27], v[6:7]
	v_fma_f64 v[6:7], v[20:21], s[26:27], -v[6:7]
	v_add_f64_e32 v[10:11], v[10:11], v[18:19]
	v_mul_f64_e32 v[18:19], s[26:27], v[28:29]
	s_delay_alu instid0(VALU_DEP_3) | instskip(NEXT) | instid1(VALU_DEP_2)
	v_add_f64_e32 v[6:7], v[6:7], v[14:15]
	v_fma_f64 v[32:33], v[8:9], s[28:29], v[18:19]
	v_fma_f64 v[14:15], v[8:9], s[24:25], v[18:19]
	v_mul_f64_e32 v[18:19], s[16:17], v[4:5]
	s_delay_alu instid0(VALU_DEP_3) | instskip(NEXT) | instid1(VALU_DEP_3)
	v_add_f64_e32 v[32:33], v[32:33], v[40:41]
	v_add_f64_e32 v[14:15], v[14:15], v[22:23]
	s_delay_alu instid0(VALU_DEP_3) | instskip(SKIP_2) | instid1(VALU_DEP_3)
	v_fma_f64 v[22:23], v[20:21], s[14:15], v[18:19]
	v_fma_f64 v[18:19], v[20:21], s[14:15], -v[18:19]
	v_mul_f64_e32 v[40:41], s[42:43], v[28:29]
	v_add_f64_e32 v[22:23], v[22:23], v[34:35]
	v_mul_f64_e32 v[34:35], s[14:15], v[28:29]
	s_delay_alu instid0(VALU_DEP_4) | instskip(NEXT) | instid1(VALU_DEP_2)
	v_add_f64_e32 v[18:19], v[18:19], v[30:31]
	v_fma_f64 v[36:37], v[8:9], s[12:13], v[34:35]
	v_fma_f64 v[30:31], v[8:9], s[16:17], v[34:35]
	v_mul_f64_e32 v[34:35], s[48:49], v[4:5]
	s_delay_alu instid0(VALU_DEP_3)
	v_add_f64_e32 v[36:37], v[36:37], v[44:45]
	v_fma_f64 v[44:45], v[8:9], s[44:45], v[40:41]
	v_fma_f64 v[40:41], v[8:9], s[48:49], v[40:41]
	v_add_f64_e32 v[30:31], v[30:31], v[38:39]
	v_fma_f64 v[38:39], v[20:21], s[42:43], v[34:35]
	v_fma_f64 v[34:35], v[20:21], s[42:43], -v[34:35]
	v_add_f64_e32 v[44:45], v[44:45], v[52:53]
	v_add_f64_e32 v[40:41], v[40:41], v[48:49]
	v_mul_f64_e32 v[48:49], s[40:41], v[28:29]
	v_add_f64_e32 v[38:39], v[38:39], v[46:47]
	v_add_f64_e32 v[34:35], v[34:35], v[42:43]
	v_mul_f64_e32 v[42:43], s[38:39], v[4:5]
	s_delay_alu instid0(VALU_DEP_4) | instskip(SKIP_1) | instid1(VALU_DEP_3)
	v_fma_f64 v[52:53], v[8:9], s[46:47], v[48:49]
	v_fma_f64 v[48:49], v[8:9], s[38:39], v[48:49]
	;; [unrolled: 1-line block ×3, first 2 shown]
	v_fma_f64 v[42:43], v[20:21], s[40:41], -v[42:43]
	s_delay_alu instid0(VALU_DEP_4) | instskip(NEXT) | instid1(VALU_DEP_4)
	v_add_f64_e32 v[61:62], v[52:53], v[61:62]
	v_add_f64_e32 v[57:58], v[48:49], v[57:58]
	v_mul_f64_e32 v[48:49], s[0:1], v[4:5]
	v_add_f64_e32 v[46:47], v[46:47], v[54:55]
	v_add_f64_e32 v[42:43], v[42:43], v[50:51]
	s_delay_alu instid0(VALU_DEP_3) | instskip(SKIP_1) | instid1(VALU_DEP_2)
	v_fma_f64 v[50:51], v[20:21], s[8:9], v[48:49]
	v_fma_f64 v[48:49], v[20:21], s[8:9], -v[48:49]
	v_add_f64_e32 v[63:64], v[50:51], v[63:64]
	v_mul_f64_e32 v[50:51], s[8:9], v[28:29]
	s_delay_alu instid0(VALU_DEP_3) | instskip(NEXT) | instid1(VALU_DEP_2)
	v_add_f64_e32 v[59:60], v[48:49], v[59:60]
	v_fma_f64 v[48:49], v[8:9], s[0:1], v[50:51]
	v_fma_f64 v[52:53], v[8:9], s[10:11], v[50:51]
	s_delay_alu instid0(VALU_DEP_2) | instskip(SKIP_1) | instid1(VALU_DEP_3)
	v_add_f64_e32 v[65:66], v[48:49], v[65:66]
	v_mul_f64_e32 v[48:49], s[36:37], v[4:5]
	v_add_f64_e32 v[126:127], v[52:53], v[126:127]
	s_delay_alu instid0(VALU_DEP_2) | instskip(SKIP_1) | instid1(VALU_DEP_2)
	v_fma_f64 v[50:51], v[20:21], s[30:31], v[48:49]
	v_fma_f64 v[48:49], v[20:21], s[30:31], -v[48:49]
	v_add_f64_e32 v[144:145], v[50:51], v[144:145]
	v_mul_f64_e32 v[50:51], s[30:31], v[28:29]
	s_delay_alu instid0(VALU_DEP_3) | instskip(NEXT) | instid1(VALU_DEP_2)
	v_add_f64_e32 v[124:125], v[48:49], v[124:125]
	v_fma_f64 v[48:49], v[8:9], s[36:37], v[50:51]
	v_fma_f64 v[52:53], v[8:9], s[34:35], v[50:51]
	s_delay_alu instid0(VALU_DEP_2) | instskip(SKIP_2) | instid1(VALU_DEP_4)
	v_add_f64_e32 v[146:147], v[48:49], v[146:147]
	v_mul_f64_e32 v[48:49], s[50:51], v[4:5]
	v_mul_f64_e32 v[4:5], s[20:21], v[4:5]
	v_add_f64_e32 v[150:151], v[52:53], v[150:151]
	s_delay_alu instid0(VALU_DEP_3) | instskip(SKIP_1) | instid1(VALU_DEP_2)
	v_fma_f64 v[50:51], v[20:21], s[52:53], v[48:49]
	v_fma_f64 v[48:49], v[20:21], s[52:53], -v[48:49]
	v_add_f64_e32 v[152:153], v[50:51], v[152:153]
	v_mul_f64_e32 v[50:51], s[52:53], v[28:29]
	s_delay_alu instid0(VALU_DEP_3) | instskip(SKIP_1) | instid1(VALU_DEP_3)
	v_add_f64_e32 v[148:149], v[48:49], v[148:149]
	v_mul_f64_e32 v[28:29], s[18:19], v[28:29]
	v_fma_f64 v[48:49], v[8:9], s[50:51], v[50:51]
	v_fma_f64 v[52:53], v[8:9], s[54:55], v[50:51]
	s_delay_alu instid0(VALU_DEP_2) | instskip(SKIP_2) | instid1(VALU_DEP_4)
	v_add_f64_e32 v[154:155], v[48:49], v[154:155]
	v_fma_f64 v[48:49], v[20:21], s[18:19], v[4:5]
	v_fma_f64 v[4:5], v[20:21], s[18:19], -v[4:5]
	v_add_f64_e32 v[158:159], v[52:53], v[158:159]
	s_delay_alu instid0(VALU_DEP_3) | instskip(SKIP_3) | instid1(VALU_DEP_3)
	v_add_f64_e32 v[156:157], v[48:49], v[156:157]
	v_fma_f64 v[48:49], v[8:9], s[22:23], v[28:29]
	v_fma_f64 v[8:9], v[8:9], s[20:21], v[28:29]
	v_add_f64_e32 v[4:5], v[4:5], v[12:13]
	v_add_f64_e32 v[160:161], v[48:49], v[160:161]
	s_delay_alu instid0(VALU_DEP_3) | instskip(SKIP_2) | instid1(VALU_DEP_2)
	v_add_f64_e32 v[12:13], v[8:9], v[16:17]
	v_mul_f64_e32 v[16:17], s[38:39], v[2:3]
	v_add_f64_e32 v[8:9], v[140:141], v[142:143]
	v_fma_f64 v[20:21], v[162:163], s[40:41], v[16:17]
	v_fma_f64 v[16:17], v[162:163], s[40:41], -v[16:17]
	s_delay_alu instid0(VALU_DEP_2) | instskip(NEXT) | instid1(VALU_DEP_4)
	v_add_f64_e32 v[140:141], v[20:21], v[10:11]
	v_mul_f64_e32 v[10:11], s[40:41], v[8:9]
	s_delay_alu instid0(VALU_DEP_3) | instskip(NEXT) | instid1(VALU_DEP_2)
	v_add_f64_e32 v[164:165], v[16:17], v[6:7]
	v_fma_f64 v[6:7], v[0:1], s[38:39], v[10:11]
	v_fma_f64 v[20:21], v[0:1], s[46:47], v[10:11]
	s_delay_alu instid0(VALU_DEP_2) | instskip(SKIP_1) | instid1(VALU_DEP_3)
	v_add_f64_e32 v[166:167], v[6:7], v[14:15]
	v_mul_f64_e32 v[6:7], s[20:21], v[2:3]
	v_add_f64_e32 v[142:143], v[20:21], v[32:33]
	s_delay_alu instid0(VALU_DEP_2) | instskip(SKIP_1) | instid1(VALU_DEP_2)
	v_fma_f64 v[10:11], v[162:163], s[18:19], v[6:7]
	v_fma_f64 v[6:7], v[162:163], s[18:19], -v[6:7]
	v_add_f64_e32 v[168:169], v[10:11], v[22:23]
	v_mul_f64_e32 v[10:11], s[18:19], v[8:9]
	s_delay_alu instid0(VALU_DEP_3) | instskip(NEXT) | instid1(VALU_DEP_2)
	v_add_f64_e32 v[172:173], v[6:7], v[18:19]
	v_fma_f64 v[6:7], v[0:1], s[20:21], v[10:11]
	v_fma_f64 v[14:15], v[0:1], s[22:23], v[10:11]
	s_delay_alu instid0(VALU_DEP_2) | instskip(SKIP_1) | instid1(VALU_DEP_3)
	v_add_f64_e32 v[174:175], v[6:7], v[30:31]
	v_mul_f64_e32 v[6:7], s[10:11], v[2:3]
	v_add_f64_e32 v[170:171], v[14:15], v[36:37]
	s_delay_alu instid0(VALU_DEP_2) | instskip(SKIP_1) | instid1(VALU_DEP_2)
	v_fma_f64 v[10:11], v[162:163], s[8:9], v[6:7]
	v_fma_f64 v[6:7], v[162:163], s[8:9], -v[6:7]
	v_add_f64_e32 v[180:181], v[10:11], v[38:39]
	v_mul_f64_e32 v[10:11], s[8:9], v[8:9]
	s_delay_alu instid0(VALU_DEP_3) | instskip(SKIP_1) | instid1(VALU_DEP_3)
	v_add_f64_e32 v[54:55], v[6:7], v[34:35]
	v_add_f64_e64 v[34:35], v[132:133], -v[134:135]
	v_fma_f64 v[6:7], v[0:1], s[10:11], v[10:11]
	v_fma_f64 v[14:15], v[0:1], s[0:1], v[10:11]
	s_delay_alu instid0(VALU_DEP_2) | instskip(SKIP_1) | instid1(VALU_DEP_3)
	v_add_f64_e32 v[52:53], v[6:7], v[40:41]
	v_mul_f64_e32 v[6:7], s[28:29], v[2:3]
	v_add_f64_e32 v[182:183], v[14:15], v[44:45]
	s_delay_alu instid0(VALU_DEP_2) | instskip(SKIP_1) | instid1(VALU_DEP_2)
	v_fma_f64 v[10:11], v[162:163], s[26:27], v[6:7]
	v_fma_f64 v[6:7], v[162:163], s[26:27], -v[6:7]
	v_add_f64_e32 v[50:51], v[10:11], v[46:47]
	v_mul_f64_e32 v[10:11], s[26:27], v[8:9]
	s_delay_alu instid0(VALU_DEP_3) | instskip(NEXT) | instid1(VALU_DEP_2)
	v_add_f64_e32 v[46:47], v[6:7], v[42:43]
	v_fma_f64 v[6:7], v[0:1], s[28:29], v[10:11]
	v_fma_f64 v[14:15], v[0:1], s[24:25], v[10:11]
	s_delay_alu instid0(VALU_DEP_2) | instskip(SKIP_1) | instid1(VALU_DEP_3)
	v_add_f64_e32 v[44:45], v[6:7], v[57:58]
	v_mul_f64_e32 v[6:7], s[48:49], v[2:3]
	v_add_f64_e32 v[48:49], v[14:15], v[61:62]
	v_mul_f64_e32 v[57:58], s[50:51], v[34:35]
	s_delay_alu instid0(VALU_DEP_3) | instskip(SKIP_1) | instid1(VALU_DEP_2)
	v_fma_f64 v[10:11], v[162:163], s[42:43], v[6:7]
	v_fma_f64 v[6:7], v[162:163], s[42:43], -v[6:7]
	v_add_f64_e32 v[42:43], v[10:11], v[63:64]
	v_mul_f64_e32 v[10:11], s[42:43], v[8:9]
	s_delay_alu instid0(VALU_DEP_3) | instskip(NEXT) | instid1(VALU_DEP_2)
	v_add_f64_e32 v[38:39], v[6:7], v[59:60]
	v_fma_f64 v[6:7], v[0:1], s[48:49], v[10:11]
	v_fma_f64 v[14:15], v[0:1], s[44:45], v[10:11]
	s_delay_alu instid0(VALU_DEP_2) | instskip(SKIP_1) | instid1(VALU_DEP_3)
	v_add_f64_e32 v[36:37], v[6:7], v[65:66]
	v_mul_f64_e32 v[6:7], s[50:51], v[2:3]
	v_add_f64_e32 v[40:41], v[14:15], v[126:127]
	s_delay_alu instid0(VALU_DEP_2) | instskip(SKIP_1) | instid1(VALU_DEP_2)
	v_fma_f64 v[10:11], v[162:163], s[52:53], v[6:7]
	v_fma_f64 v[6:7], v[162:163], s[52:53], -v[6:7]
	v_add_f64_e32 v[32:33], v[10:11], v[144:145]
	v_mul_f64_e32 v[10:11], s[52:53], v[8:9]
	s_delay_alu instid0(VALU_DEP_3) | instskip(NEXT) | instid1(VALU_DEP_2)
	v_add_f64_e32 v[28:29], v[6:7], v[124:125]
	v_fma_f64 v[6:7], v[0:1], s[50:51], v[10:11]
	v_fma_f64 v[14:15], v[0:1], s[54:55], v[10:11]
	s_delay_alu instid0(VALU_DEP_2) | instskip(SKIP_1) | instid1(VALU_DEP_3)
	v_add_f64_e32 v[22:23], v[6:7], v[146:147]
	v_mul_f64_e32 v[6:7], s[34:35], v[2:3]
	v_add_f64_e32 v[30:31], v[14:15], v[150:151]
	v_mul_f64_e32 v[2:3], s[12:13], v[2:3]
	s_delay_alu instid0(VALU_DEP_3) | instskip(SKIP_1) | instid1(VALU_DEP_2)
	v_fma_f64 v[10:11], v[162:163], s[30:31], v[6:7]
	v_fma_f64 v[6:7], v[162:163], s[30:31], -v[6:7]
	v_add_f64_e32 v[20:21], v[10:11], v[152:153]
	v_mul_f64_e32 v[10:11], s[30:31], v[8:9]
	s_delay_alu instid0(VALU_DEP_3) | instskip(NEXT) | instid1(VALU_DEP_2)
	v_add_f64_e32 v[16:17], v[6:7], v[148:149]
	v_fma_f64 v[14:15], v[0:1], s[36:37], v[10:11]
	v_fma_f64 v[6:7], v[0:1], s[34:35], v[10:11]
	s_delay_alu instid0(VALU_DEP_2) | instskip(NEXT) | instid1(VALU_DEP_2)
	v_add_f64_e32 v[18:19], v[14:15], v[158:159]
	v_add_f64_e32 v[14:15], v[6:7], v[154:155]
	v_fma_f64 v[6:7], v[162:163], s[14:15], v[2:3]
	v_fma_f64 v[2:3], v[162:163], s[14:15], -v[2:3]
	s_delay_alu instid0(VALU_DEP_2) | instskip(SKIP_1) | instid1(VALU_DEP_3)
	v_add_f64_e32 v[10:11], v[6:7], v[156:157]
	v_mul_f64_e32 v[6:7], s[14:15], v[8:9]
	v_add_f64_e32 v[2:3], v[2:3], v[4:5]
	v_add_f64_e64 v[4:5], v[136:137], -v[138:139]
	s_delay_alu instid0(VALU_DEP_3) | instskip(SKIP_2) | instid1(VALU_DEP_3)
	v_fma_f64 v[8:9], v[0:1], s[16:17], v[6:7]
	v_fma_f64 v[0:1], v[0:1], s[12:13], v[6:7]
	v_add_f64_e32 v[6:7], v[136:137], v[138:139]
	v_add_f64_e32 v[8:9], v[8:9], v[160:161]
	s_delay_alu instid0(VALU_DEP_3) | instskip(SKIP_1) | instid1(VALU_DEP_4)
	v_add_f64_e32 v[0:1], v[0:1], v[12:13]
	v_add_f64_e32 v[12:13], v[132:133], v[134:135]
	v_fma_f64 v[59:60], v[6:7], s[52:53], v[57:58]
	v_fma_f64 v[57:58], v[6:7], s[52:53], -v[57:58]
	s_delay_alu instid0(VALU_DEP_2) | instskip(NEXT) | instid1(VALU_DEP_4)
	v_add_f64_e32 v[152:153], v[59:60], v[140:141]
	v_mul_f64_e32 v[59:60], s[52:53], v[12:13]
	s_delay_alu instid0(VALU_DEP_3) | instskip(NEXT) | instid1(VALU_DEP_2)
	v_add_f64_e32 v[132:133], v[57:58], v[164:165]
	v_fma_f64 v[57:58], v[4:5], s[50:51], v[59:60]
	v_fma_f64 v[61:62], v[4:5], s[54:55], v[59:60]
	s_delay_alu instid0(VALU_DEP_2) | instskip(SKIP_1) | instid1(VALU_DEP_3)
	v_add_f64_e32 v[134:135], v[57:58], v[166:167]
	v_mul_f64_e32 v[57:58], s[44:45], v[34:35]
	v_add_f64_e32 v[154:155], v[61:62], v[142:143]
	s_delay_alu instid0(VALU_DEP_2) | instskip(SKIP_1) | instid1(VALU_DEP_2)
	v_fma_f64 v[59:60], v[6:7], s[42:43], v[57:58]
	v_fma_f64 v[57:58], v[6:7], s[42:43], -v[57:58]
	v_add_f64_e32 v[156:157], v[59:60], v[168:169]
	v_mul_f64_e32 v[59:60], s[42:43], v[12:13]
	s_delay_alu instid0(VALU_DEP_3) | instskip(NEXT) | instid1(VALU_DEP_2)
	v_add_f64_e32 v[136:137], v[57:58], v[172:173]
	v_fma_f64 v[57:58], v[4:5], s[44:45], v[59:60]
	v_fma_f64 v[61:62], v[4:5], s[48:49], v[59:60]
	s_delay_alu instid0(VALU_DEP_2) | instskip(SKIP_1) | instid1(VALU_DEP_3)
	v_add_f64_e32 v[138:139], v[57:58], v[174:175]
	v_mul_f64_e32 v[57:58], s[38:39], v[34:35]
	v_add_f64_e32 v[158:159], v[61:62], v[170:171]
	s_delay_alu instid0(VALU_DEP_2) | instskip(SKIP_1) | instid1(VALU_DEP_2)
	v_fma_f64 v[59:60], v[6:7], s[40:41], v[57:58]
	v_fma_f64 v[57:58], v[6:7], s[40:41], -v[57:58]
	v_add_f64_e32 v[160:161], v[59:60], v[180:181]
	v_mul_f64_e32 v[59:60], s[40:41], v[12:13]
	s_delay_alu instid0(VALU_DEP_3) | instskip(NEXT) | instid1(VALU_DEP_2)
	v_add_f64_e32 v[140:141], v[57:58], v[54:55]
	v_fma_f64 v[54:55], v[4:5], s[38:39], v[59:60]
	v_fma_f64 v[61:62], v[4:5], s[46:47], v[59:60]
	s_delay_alu instid0(VALU_DEP_2) | instskip(SKIP_1) | instid1(VALU_DEP_3)
	v_add_f64_e32 v[142:143], v[54:55], v[52:53]
	v_mul_f64_e32 v[52:53], s[34:35], v[34:35]
	v_add_f64_e32 v[162:163], v[61:62], v[182:183]
	s_delay_alu instid0(VALU_DEP_2) | instskip(NEXT) | instid1(VALU_DEP_1)
	v_fma_f64 v[54:55], v[6:7], s[30:31], v[52:53]
	v_add_f64_e32 v[164:165], v[54:55], v[50:51]
	v_mul_f64_e32 v[50:51], s[30:31], v[12:13]
	s_delay_alu instid0(VALU_DEP_1) | instskip(NEXT) | instid1(VALU_DEP_1)
	v_fma_f64 v[54:55], v[4:5], s[36:37], v[50:51]
	v_add_f64_e32 v[166:167], v[54:55], v[48:49]
	v_fma_f64 v[48:49], v[6:7], s[30:31], -v[52:53]
	s_delay_alu instid0(VALU_DEP_1) | instskip(SKIP_1) | instid1(VALU_DEP_1)
	v_add_f64_e32 v[144:145], v[48:49], v[46:47]
	v_fma_f64 v[46:47], v[4:5], s[34:35], v[50:51]
	v_add_f64_e32 v[146:147], v[46:47], v[44:45]
	v_mul_f64_e32 v[44:45], s[24:25], v[34:35]
	s_delay_alu instid0(VALU_DEP_1) | instskip(NEXT) | instid1(VALU_DEP_1)
	v_fma_f64 v[46:47], v[6:7], s[26:27], v[44:45]
	v_add_f64_e32 v[168:169], v[46:47], v[42:43]
	v_mul_f64_e32 v[42:43], s[26:27], v[12:13]
	s_delay_alu instid0(VALU_DEP_1) | instskip(NEXT) | instid1(VALU_DEP_1)
	v_fma_f64 v[46:47], v[4:5], s[28:29], v[42:43]
	v_add_f64_e32 v[170:171], v[46:47], v[40:41]
	v_fma_f64 v[40:41], v[6:7], s[26:27], -v[44:45]
	s_delay_alu instid0(VALU_DEP_1) | instskip(SKIP_2) | instid1(VALU_DEP_2)
	v_add_f64_e32 v[148:149], v[40:41], v[38:39]
	v_fma_f64 v[38:39], v[4:5], s[24:25], v[42:43]
	v_mul_f64_e32 v[40:41], s[20:21], v[34:35]
	v_add_f64_e32 v[150:151], v[38:39], v[36:37]
	s_delay_alu instid0(VALU_DEP_2) | instskip(NEXT) | instid1(VALU_DEP_1)
	v_fma_f64 v[36:37], v[6:7], s[18:19], v[40:41]
	v_add_f64_e32 v[36:37], v[36:37], v[32:33]
	v_mul_f64_e32 v[32:33], s[18:19], v[12:13]
	s_delay_alu instid0(VALU_DEP_1) | instskip(NEXT) | instid1(VALU_DEP_1)
	v_fma_f64 v[38:39], v[4:5], s[22:23], v[32:33]
	v_add_f64_e32 v[38:39], v[38:39], v[30:31]
	v_fma_f64 v[30:31], v[6:7], s[18:19], -v[40:41]
	v_mul_f64_e32 v[40:41], s[14:15], v[12:13]
	s_delay_alu instid0(VALU_DEP_2) | instskip(SKIP_2) | instid1(VALU_DEP_2)
	v_add_f64_e32 v[28:29], v[30:31], v[28:29]
	v_fma_f64 v[30:31], v[4:5], s[20:21], v[32:33]
	v_mul_f64_e32 v[32:33], s[12:13], v[34:35]
	v_add_f64_e32 v[30:31], v[30:31], v[22:23]
	s_delay_alu instid0(VALU_DEP_2) | instskip(NEXT) | instid1(VALU_DEP_1)
	v_fma_f64 v[22:23], v[6:7], s[14:15], v[32:33]
	v_add_f64_e32 v[20:21], v[22:23], v[20:21]
	v_fma_f64 v[22:23], v[4:5], s[16:17], v[40:41]
	s_delay_alu instid0(VALU_DEP_1) | instskip(SKIP_1) | instid1(VALU_DEP_1)
	v_add_f64_e32 v[22:23], v[22:23], v[18:19]
	v_fma_f64 v[18:19], v[6:7], s[14:15], -v[32:33]
	v_add_f64_e32 v[16:17], v[18:19], v[16:17]
	v_fma_f64 v[18:19], v[4:5], s[12:13], v[40:41]
	s_delay_alu instid0(VALU_DEP_1) | instskip(SKIP_1) | instid1(VALU_DEP_1)
	v_add_f64_e32 v[18:19], v[18:19], v[14:15]
	v_mul_f64_e32 v[14:15], s[0:1], v[34:35]
	v_fma_f64 v[32:33], v[6:7], s[8:9], v[14:15]
	v_fma_f64 v[6:7], v[6:7], s[8:9], -v[14:15]
	s_delay_alu instid0(VALU_DEP_2) | instskip(SKIP_1) | instid1(VALU_DEP_3)
	v_add_f64_e32 v[10:11], v[32:33], v[10:11]
	v_mul_f64_e32 v[32:33], s[8:9], v[12:13]
	v_add_f64_e32 v[2:3], v[6:7], v[2:3]
	s_delay_alu instid0(VALU_DEP_2) | instskip(SKIP_1) | instid1(VALU_DEP_2)
	v_fma_f64 v[12:13], v[4:5], s[10:11], v[32:33]
	v_fma_f64 v[4:5], v[4:5], s[0:1], v[32:33]
	v_add_f64_e32 v[12:13], v[12:13], v[8:9]
	s_delay_alu instid0(VALU_DEP_2)
	v_add_f64_e32 v[4:5], v[4:5], v[0:1]
	ds_store_b128 v56, v[128:131]
	ds_store_b128 v56, v[152:155] offset:272
	ds_store_b128 v56, v[156:159] offset:544
	ds_store_b128 v56, v[160:163] offset:816
	ds_store_b128 v56, v[164:167] offset:1088
	ds_store_b128 v56, v[168:171] offset:1360
	ds_store_b128 v56, v[36:39] offset:1632
	ds_store_b128 v56, v[20:23] offset:1904
	ds_store_b128 v56, v[10:13] offset:2176
	ds_store_b128 v56, v[2:5] offset:2448
	ds_store_b128 v56, v[16:19] offset:2720
	ds_store_b128 v56, v[28:31] offset:2992
	ds_store_b128 v56, v[148:151] offset:3264
	ds_store_b128 v56, v[144:147] offset:3536
	ds_store_b128 v56, v[140:143] offset:3808
	ds_store_b128 v56, v[136:139] offset:4080
	ds_store_b128 v56, v[132:135] offset:4352
	global_wb scope:SCOPE_SE
	s_wait_dscnt 0x0
	s_barrier_signal -1
	s_barrier_wait -1
	global_inv scope:SCOPE_SE
	ds_load_b128 v[128:131], v246
	ds_load_b128 v[156:159], v246 offset:4624
	ds_load_b128 v[160:163], v246 offset:9248
	ds_load_b128 v[192:195], v246 offset:13872
	ds_load_b128 v[164:167], v246 offset:18496
	ds_load_b128 v[196:199], v246 offset:23120
	ds_load_b128 v[152:155], v246 offset:1632
	ds_load_b128 v[168:171], v246 offset:6256
	ds_load_b128 v[172:175], v246 offset:10880
	ds_load_b128 v[184:187], v246 offset:15504
	ds_load_b128 v[180:183], v246 offset:20128
	ds_load_b128 v[188:191], v246 offset:24752
	s_and_saveexec_b32 s0, vcc_lo
	s_cbranch_execz .LBB0_7
; %bb.6:
	ds_load_b128 v[148:151], v246 offset:3264
	ds_load_b128 v[144:147], v246 offset:7888
	;; [unrolled: 1-line block ×6, first 2 shown]
.LBB0_7:
	s_wait_alu 0xfffe
	s_or_b32 exec_lo, exec_lo, s0
	s_wait_dscnt 0x8
	v_mul_f64_e32 v[0:1], v[90:91], v[192:193]
	s_wait_dscnt 0x6
	v_mul_f64_e32 v[2:3], v[110:111], v[196:197]
	;; [unrolled: 2-line block ×4, first 2 shown]
	v_mul_f64_e32 v[8:9], v[86:87], v[156:157]
	v_mul_f64_e32 v[10:11], v[90:91], v[194:195]
	v_mul_f64_e32 v[12:13], v[110:111], v[198:199]
	v_mul_f64_e32 v[14:15], v[94:95], v[168:169]
	v_mul_f64_e32 v[16:17], v[102:103], v[186:187]
	v_mul_f64_e32 v[18:19], v[106:107], v[190:191]
	v_mul_f64_e32 v[20:21], v[86:87], v[158:159]
	v_mul_f64_e32 v[22:23], v[98:99], v[162:163]
	v_mul_f64_e32 v[28:29], v[98:99], v[160:161]
	v_mul_f64_e32 v[30:31], v[122:123], v[166:167]
	v_mul_f64_e32 v[32:33], v[122:123], v[164:165]
	v_mul_f64_e32 v[34:35], v[94:95], v[170:171]
	v_mul_f64_e32 v[38:39], v[118:119], v[174:175]
	v_mul_f64_e32 v[40:41], v[118:119], v[172:173]
	v_mul_f64_e32 v[42:43], v[26:27], v[182:183]
	v_mul_f64_e32 v[26:27], v[26:27], v[180:181]
	s_mov_b32 s0, 0xe8584caa
	s_mov_b32 s1, 0xbfebb67a
	;; [unrolled: 1-line block ×3, first 2 shown]
	s_wait_alu 0xfffe
	s_mov_b32 s8, s0
	v_fma_f64 v[0:1], v[88:89], v[194:195], -v[0:1]
	v_fma_f64 v[2:3], v[108:109], v[198:199], -v[2:3]
	;; [unrolled: 1-line block ×5, first 2 shown]
	v_fma_f64 v[10:11], v[88:89], v[192:193], v[10:11]
	v_fma_f64 v[12:13], v[108:109], v[196:197], v[12:13]
	v_fma_f64 v[14:15], v[92:93], v[170:171], -v[14:15]
	v_fma_f64 v[16:17], v[100:101], v[184:185], v[16:17]
	v_fma_f64 v[18:19], v[104:105], v[188:189], v[18:19]
	;; [unrolled: 1-line block ×4, first 2 shown]
	v_fma_f64 v[28:29], v[96:97], v[162:163], -v[28:29]
	v_fma_f64 v[30:31], v[120:121], v[164:165], v[30:31]
	v_fma_f64 v[32:33], v[120:121], v[166:167], -v[32:33]
	v_fma_f64 v[38:39], v[116:117], v[172:173], v[38:39]
	;; [unrolled: 2-line block ×4, first 2 shown]
	v_add_f64_e32 v[36:37], v[0:1], v[2:3]
	v_add_f64_e64 v[56:57], v[0:1], -v[2:3]
	v_add_f64_e32 v[44:45], v[4:5], v[6:7]
	v_add_f64_e64 v[62:63], v[4:5], -v[6:7]
	v_add_f64_e32 v[0:1], v[8:9], v[0:1]
	v_add_f64_e32 v[46:47], v[10:11], v[12:13]
	v_add_f64_e64 v[48:49], v[10:11], -v[12:13]
	v_add_f64_e32 v[4:5], v[14:15], v[4:5]
	;; [unrolled: 3-line block ×3, first 2 shown]
	v_add_f64_e32 v[52:53], v[22:23], v[30:31]
	v_add_f64_e32 v[54:55], v[28:29], v[32:33]
	v_add_f64_e64 v[66:67], v[28:29], -v[32:33]
	v_add_f64_e32 v[28:29], v[130:131], v[28:29]
	v_add_f64_e32 v[60:61], v[40:41], v[24:25]
	;; [unrolled: 1-line block ×3, first 2 shown]
	v_fma_f64 v[36:37], v[36:37], -0.5, v[8:9]
	v_add_f64_e32 v[8:9], v[152:153], v[38:39]
	v_fma_f64 v[44:45], v[44:45], -0.5, v[14:15]
	v_fma_f64 v[46:47], v[46:47], -0.5, v[20:21]
	v_add_f64_e64 v[20:21], v[40:41], -v[24:25]
	v_add_f64_e32 v[40:41], v[154:155], v[40:41]
	v_fma_f64 v[34:35], v[34:35], -0.5, v[26:27]
	v_add_f64_e32 v[10:11], v[10:11], v[12:13]
	v_add_f64_e32 v[12:13], v[0:1], v[2:3]
	v_fma_f64 v[14:15], v[52:53], -0.5, v[128:129]
	v_fma_f64 v[26:27], v[54:55], -0.5, v[130:131]
	v_add_f64_e32 v[28:29], v[28:29], v[32:33]
	v_fma_f64 v[60:61], v[60:61], -0.5, v[154:155]
	v_add_f64_e32 v[16:17], v[16:17], v[18:19]
	v_add_f64_e32 v[18:19], v[4:5], v[6:7]
	s_wait_alu 0xfffe
	v_fma_f64 v[58:59], v[48:49], s[8:9], v[36:37]
	v_fma_f64 v[36:37], v[48:49], s[0:1], v[36:37]
	v_add_f64_e32 v[48:49], v[38:39], v[42:43]
	v_fma_f64 v[64:65], v[50:51], s[8:9], v[44:45]
	v_fma_f64 v[44:45], v[50:51], s[0:1], v[44:45]
	v_add_f64_e32 v[50:51], v[128:129], v[22:23]
	v_add_f64_e64 v[22:23], v[22:23], -v[30:31]
	v_fma_f64 v[52:53], v[56:57], s[0:1], v[46:47]
	v_add_f64_e64 v[38:39], v[38:39], -v[42:43]
	v_fma_f64 v[46:47], v[56:57], s[8:9], v[46:47]
	v_fma_f64 v[84:85], v[62:63], s[0:1], v[34:35]
	;; [unrolled: 1-line block ×3, first 2 shown]
	v_add_f64_e32 v[32:33], v[8:9], v[42:43]
	v_add_f64_e32 v[24:25], v[40:41], v[24:25]
	v_fma_f64 v[40:41], v[66:67], s[0:1], v[14:15]
	v_fma_f64 v[42:43], v[66:67], s[8:9], v[14:15]
	v_add_f64_e32 v[2:3], v[28:29], v[12:13]
	v_add_f64_e64 v[6:7], v[28:29], -v[12:13]
	v_mul_f64_e32 v[54:55], s[0:1], v[58:59]
	v_mul_f64_e32 v[58:59], 0.5, v[58:59]
	v_mul_f64_e32 v[56:57], s[0:1], v[36:37]
	v_mul_f64_e32 v[36:37], -0.5, v[36:37]
	v_fma_f64 v[48:49], v[48:49], -0.5, v[152:153]
	v_mul_f64_e32 v[62:63], s[0:1], v[64:65]
	v_mul_f64_e32 v[64:65], 0.5, v[64:65]
	v_mul_f64_e32 v[86:87], s[0:1], v[44:45]
	v_mul_f64_e32 v[44:45], -0.5, v[44:45]
	v_add_f64_e32 v[30:31], v[50:51], v[30:31]
	v_fma_f64 v[50:51], v[22:23], s[8:9], v[26:27]
	v_fma_f64 v[66:67], v[22:23], s[0:1], v[26:27]
	v_add_f64_e32 v[8:9], v[32:33], v[16:17]
	v_add_f64_e64 v[12:13], v[32:33], -v[16:17]
	v_add_f64_e64 v[14:15], v[24:25], -v[18:19]
	v_fma_f64 v[26:27], v[52:53], 0.5, v[54:55]
	v_fma_f64 v[52:53], v[52:53], s[8:9], v[58:59]
	v_fma_f64 v[54:55], v[46:47], -0.5, v[56:57]
	v_fma_f64 v[36:37], v[46:47], s[8:9], v[36:37]
	v_fma_f64 v[46:47], v[20:21], s[0:1], v[48:49]
	;; [unrolled: 1-line block ×4, first 2 shown]
	v_fma_f64 v[60:61], v[84:85], 0.5, v[62:63]
	v_fma_f64 v[62:63], v[84:85], s[8:9], v[64:65]
	v_fma_f64 v[48:49], v[20:21], s[8:9], v[48:49]
	v_fma_f64 v[64:65], v[34:35], -0.5, v[86:87]
	v_fma_f64 v[84:85], v[34:35], s[8:9], v[44:45]
	v_add_f64_e32 v[0:1], v[30:31], v[10:11]
	v_add_f64_e64 v[4:5], v[30:31], -v[10:11]
	v_add_f64_e32 v[10:11], v[24:25], v[18:19]
	v_add_f64_e32 v[16:17], v[40:41], v[26:27]
	;; [unrolled: 1-line block ×5, first 2 shown]
	v_add_f64_e64 v[30:31], v[66:67], -v[36:37]
	v_add_f64_e64 v[24:25], v[40:41], -v[26:27]
	;; [unrolled: 1-line block ×3, first 2 shown]
	v_add_f64_e32 v[32:33], v[46:47], v[60:61]
	v_add_f64_e32 v[34:35], v[56:57], v[62:63]
	v_add_f64_e64 v[28:29], v[42:43], -v[54:55]
	v_add_f64_e32 v[36:37], v[48:49], v[64:65]
	v_add_f64_e32 v[38:39], v[58:59], v[84:85]
	v_add_f64_e64 v[40:41], v[46:47], -v[60:61]
	v_add_f64_e64 v[42:43], v[56:57], -v[62:63]
	;; [unrolled: 1-line block ×4, first 2 shown]
	ds_store_b128 v246, v[0:3]
	ds_store_b128 v246, v[8:11] offset:1632
	ds_store_b128 v246, v[4:7] offset:13872
	;; [unrolled: 1-line block ×11, first 2 shown]
	s_and_saveexec_b32 s10, vcc_lo
	s_cbranch_execz .LBB0_9
; %bb.8:
	v_mul_f64_e32 v[0:1], v[70:71], v[136:137]
	v_mul_f64_e32 v[2:3], v[78:79], v[176:177]
	;; [unrolled: 1-line block ×10, first 2 shown]
	v_fma_f64 v[0:1], v[68:69], v[138:139], -v[0:1]
	v_fma_f64 v[2:3], v[76:77], v[178:179], -v[2:3]
	v_fma_f64 v[4:5], v[68:69], v[136:137], v[4:5]
	v_fma_f64 v[6:7], v[76:77], v[176:177], v[6:7]
	v_fma_f64 v[8:9], v[72:73], v[146:147], -v[8:9]
	v_fma_f64 v[10:11], v[80:81], v[142:143], -v[10:11]
	;; [unrolled: 1-line block ×3, first 2 shown]
	v_fma_f64 v[14:15], v[80:81], v[140:141], v[14:15]
	v_fma_f64 v[16:17], v[112:113], v[132:133], v[16:17]
	;; [unrolled: 1-line block ×3, first 2 shown]
	v_add_f64_e32 v[20:21], v[0:1], v[2:3]
	v_add_f64_e64 v[28:29], v[0:1], -v[2:3]
	v_add_f64_e32 v[22:23], v[4:5], v[6:7]
	v_add_f64_e64 v[24:25], v[4:5], -v[6:7]
	v_add_f64_e32 v[34:35], v[150:151], v[10:11]
	v_add_f64_e32 v[26:27], v[10:11], v[12:13]
	;; [unrolled: 1-line block ×5, first 2 shown]
	v_fma_f64 v[20:21], v[20:21], -0.5, v[8:9]
	v_add_f64_e64 v[8:9], v[10:11], -v[12:13]
	v_fma_f64 v[22:23], v[22:23], -0.5, v[18:19]
	v_add_f64_e32 v[10:11], v[148:149], v[14:15]
	v_add_f64_e32 v[12:13], v[34:35], v[12:13]
	v_add_f64_e32 v[34:35], v[0:1], v[2:3]
	v_fma_f64 v[18:19], v[30:31], -0.5, v[148:149]
	v_add_f64_e32 v[4:5], v[4:5], v[6:7]
	v_fma_f64 v[32:33], v[24:25], s[0:1], v[20:21]
	v_fma_f64 v[20:21], v[24:25], s[8:9], v[20:21]
	v_add_f64_e64 v[24:25], v[14:15], -v[16:17]
	v_fma_f64 v[14:15], v[26:27], -0.5, v[150:151]
	v_fma_f64 v[26:27], v[28:29], s[8:9], v[22:23]
	v_fma_f64 v[22:23], v[28:29], s[0:1], v[22:23]
	v_add_f64_e32 v[10:11], v[10:11], v[16:17]
	v_fma_f64 v[36:37], v[8:9], s[8:9], v[18:19]
	v_fma_f64 v[8:9], v[8:9], s[0:1], v[18:19]
	v_add_f64_e32 v[6:7], v[12:13], v[34:35]
	v_add_f64_e64 v[2:3], v[12:13], -v[34:35]
	v_mul_f64_e32 v[30:31], -0.5, v[32:33]
	v_mul_f64_e32 v[28:29], 0.5, v[20:21]
	v_mul_f64_e32 v[20:21], s[0:1], v[20:21]
	v_mul_f64_e32 v[32:33], s[0:1], v[32:33]
	v_fma_f64 v[16:17], v[24:25], s[0:1], v[14:15]
	v_fma_f64 v[24:25], v[24:25], s[8:9], v[14:15]
	v_add_f64_e64 v[0:1], v[10:11], -v[4:5]
	v_add_f64_e32 v[4:5], v[10:11], v[4:5]
	v_fma_f64 v[14:15], v[26:27], s[8:9], v[30:31]
	v_fma_f64 v[28:29], v[22:23], s[8:9], v[28:29]
	v_fma_f64 v[20:21], v[22:23], 0.5, v[20:21]
	v_fma_f64 v[26:27], v[26:27], -0.5, v[32:33]
	s_delay_alu instid0(VALU_DEP_4)
	v_add_f64_e64 v[10:11], v[16:17], -v[14:15]
	v_add_f64_e32 v[14:15], v[16:17], v[14:15]
	v_add_f64_e32 v[18:19], v[24:25], v[28:29]
	;; [unrolled: 1-line block ×4, first 2 shown]
	v_add_f64_e64 v[22:23], v[24:25], -v[28:29]
	v_add_f64_e64 v[20:21], v[8:9], -v[20:21]
	;; [unrolled: 1-line block ×3, first 2 shown]
	ds_store_b128 v246, v[4:7] offset:3264
	ds_store_b128 v246, v[16:19] offset:7888
	ds_store_b128 v246, v[12:15] offset:12512
	ds_store_b128 v246, v[0:3] offset:17136
	ds_store_b128 v246, v[20:23] offset:21760
	ds_store_b128 v246, v[8:11] offset:26384
.LBB0_9:
	s_wait_alu 0xfffe
	s_or_b32 exec_lo, exec_lo, s10
	global_wb scope:SCOPE_SE
	s_wait_dscnt 0x0
	s_barrier_signal -1
	s_barrier_wait -1
	global_inv scope:SCOPE_SE
	ds_load_b128 v[0:3], v246
	ds_load_b128 v[4:7], v246 offset:1632
	ds_load_b128 v[8:11], v246 offset:3264
	;; [unrolled: 1-line block ×5, first 2 shown]
	s_clause 0x1
	scratch_load_b64 v[24:25], off, off th:TH_LOAD_LU
	scratch_load_b128 v[110:113], off, off offset:12 th:TH_LOAD_LU
	v_mad_co_u64_u32 v[94:95], null, s4, v242, 0
	s_mov_b32 s0, 0x8b5e3104
	s_mov_b32 s1, 0x3f42e5b8
	s_mul_u64 s[8:9], s[4:5], 0x660
	scratch_load_b128 v[124:127], off, off offset:108 th:TH_LOAD_LU ; 16-byte Folded Reload
	s_wait_loadcnt 0x2
	v_mov_b32_e32 v96, v24
	s_wait_loadcnt_dscnt 0x105
	v_mul_f64_e32 v[70:71], v[112:113], v[2:3]
	v_mul_f64_e32 v[72:73], v[112:113], v[0:1]
	scratch_load_b128 v[112:115], off, off offset:28 th:TH_LOAD_LU ; 16-byte Folded Reload
	v_mad_co_u64_u32 v[68:69], null, s6, v96, 0
	s_wait_loadcnt_dscnt 0x100
	v_mul_f64_e32 v[90:91], v[126:127], v[22:23]
	v_mul_f64_e32 v[92:93], v[126:127], v[20:21]
	s_delay_alu instid0(VALU_DEP_3)
	v_mad_co_u64_u32 v[96:97], null, s7, v96, v[69:70]
	v_fma_f64 v[0:1], v[110:111], v[0:1], v[70:71]
	v_fma_f64 v[2:3], v[110:111], v[2:3], -v[72:73]
	v_fma_f64 v[20:21], v[124:125], v[20:21], v[90:91]
	v_fma_f64 v[22:23], v[124:125], v[22:23], -v[92:93]
	v_mad_co_u64_u32 v[97:98], null, s5, v242, v[95:96]
	v_mov_b32_e32 v69, v96
	s_delay_alu instid0(VALU_DEP_1) | instskip(NEXT) | instid1(VALU_DEP_3)
	v_lshlrev_b64_e32 v[68:69], 4, v[68:69]
	v_mov_b32_e32 v95, v97
	s_delay_alu instid0(VALU_DEP_2) | instskip(SKIP_1) | instid1(VALU_DEP_3)
	v_add_co_u32 v110, vcc_lo, s2, v68
	s_wait_alu 0xfffd
	v_add_co_ci_u32_e32 v111, vcc_lo, s3, v69, vcc_lo
	s_delay_alu instid0(VALU_DEP_3) | instskip(NEXT) | instid1(VALU_DEP_1)
	v_lshlrev_b64_e32 v[94:95], 4, v[94:95]
	v_add_co_u32 v94, vcc_lo, v110, v94
	s_wait_alu 0xfffd
	s_delay_alu instid0(VALU_DEP_2)
	v_add_co_ci_u32_e32 v95, vcc_lo, v111, v95, vcc_lo
	s_wait_alu 0xfffe
	v_mul_f64_e32 v[0:1], s[0:1], v[0:1]
	v_mul_f64_e32 v[2:3], s[0:1], v[2:3]
	;; [unrolled: 1-line block ×4, first 2 shown]
	s_wait_loadcnt 0x0
	v_mul_f64_e32 v[74:75], v[114:115], v[6:7]
	v_mul_f64_e32 v[76:77], v[114:115], v[4:5]
	scratch_load_b128 v[114:117], off, off offset:44 th:TH_LOAD_LU ; 16-byte Folded Reload
	v_fma_f64 v[4:5], v[112:113], v[4:5], v[74:75]
	v_fma_f64 v[6:7], v[112:113], v[6:7], -v[76:77]
	v_add_co_u32 v112, vcc_lo, v94, s8
	s_wait_alu 0xfffd
	v_add_co_ci_u32_e32 v113, vcc_lo, s9, v95, vcc_lo
	s_delay_alu instid0(VALU_DEP_4) | instskip(NEXT) | instid1(VALU_DEP_4)
	v_mul_f64_e32 v[4:5], s[0:1], v[4:5]
	v_mul_f64_e32 v[6:7], s[0:1], v[6:7]
	s_wait_loadcnt 0x0
	v_mul_f64_e32 v[78:79], v[116:117], v[10:11]
	v_mul_f64_e32 v[80:81], v[116:117], v[8:9]
	scratch_load_b128 v[116:119], off, off offset:60 th:TH_LOAD_LU ; 16-byte Folded Reload
	v_fma_f64 v[8:9], v[114:115], v[8:9], v[78:79]
	v_fma_f64 v[10:11], v[114:115], v[10:11], -v[80:81]
	s_delay_alu instid0(VALU_DEP_2) | instskip(NEXT) | instid1(VALU_DEP_2)
	v_mul_f64_e32 v[8:9], s[0:1], v[8:9]
	v_mul_f64_e32 v[10:11], s[0:1], v[10:11]
	s_wait_loadcnt 0x0
	v_mul_f64_e32 v[82:83], v[118:119], v[14:15]
	v_mul_f64_e32 v[84:85], v[118:119], v[12:13]
	scratch_load_b128 v[118:121], off, off offset:76 th:TH_LOAD_LU ; 16-byte Folded Reload
	ds_load_b128 v[24:27], v246 offset:9792
	ds_load_b128 v[28:31], v246 offset:11424
	;; [unrolled: 1-line block ×11, first 2 shown]
	scratch_load_b128 v[126:129], off, off offset:124 th:TH_LOAD_LU ; 16-byte Folded Reload
	v_fma_f64 v[12:13], v[116:117], v[12:13], v[82:83]
	v_fma_f64 v[14:15], v[116:117], v[14:15], -v[84:85]
	v_add_co_u32 v116, vcc_lo, v112, s8
	s_wait_alu 0xfffd
	v_add_co_ci_u32_e32 v117, vcc_lo, s9, v113, vcc_lo
	s_delay_alu instid0(VALU_DEP_4) | instskip(NEXT) | instid1(VALU_DEP_4)
	v_mul_f64_e32 v[12:13], s[0:1], v[12:13]
	v_mul_f64_e32 v[14:15], s[0:1], v[14:15]
	s_wait_loadcnt 0x1
	v_mul_f64_e32 v[86:87], v[120:121], v[18:19]
	v_mul_f64_e32 v[88:89], v[120:121], v[16:17]
	scratch_load_b128 v[120:123], off, off offset:92 th:TH_LOAD_LU ; 16-byte Folded Reload
	s_wait_loadcnt_dscnt 0x109
	v_mul_f64_e32 v[102:103], v[128:129], v[30:31]
	v_mul_f64_e32 v[104:105], v[128:129], v[28:29]
	scratch_load_b128 v[128:131], off, off offset:140 th:TH_LOAD_LU ; 16-byte Folded Reload
	v_fma_f64 v[16:17], v[118:119], v[16:17], v[86:87]
	v_fma_f64 v[18:19], v[118:119], v[18:19], -v[88:89]
	v_fma_f64 v[28:29], v[126:127], v[28:29], v[102:103]
	v_fma_f64 v[30:31], v[126:127], v[30:31], -v[104:105]
	s_delay_alu instid0(VALU_DEP_4) | instskip(NEXT) | instid1(VALU_DEP_4)
	v_mul_f64_e32 v[16:17], s[0:1], v[16:17]
	v_mul_f64_e32 v[18:19], s[0:1], v[18:19]
	s_wait_loadcnt 0x1
	v_mul_f64_e32 v[98:99], v[122:123], v[26:27]
	v_mul_f64_e32 v[100:101], v[122:123], v[24:25]
	scratch_load_b128 v[122:125], off, off offset:156 th:TH_LOAD_LU ; 16-byte Folded Reload
	s_wait_loadcnt_dscnt 0x108
	v_mul_f64_e32 v[106:107], v[130:131], v[34:35]
	v_mul_f64_e32 v[108:109], v[130:131], v[32:33]
	scratch_load_b128 v[130:133], off, off offset:172 th:TH_LOAD_LU ; 16-byte Folded Reload
	v_fma_f64 v[24:25], v[120:121], v[24:25], v[98:99]
	v_fma_f64 v[26:27], v[120:121], v[26:27], -v[100:101]
	v_add_co_u32 v98, vcc_lo, v116, s8
	s_wait_alu 0xfffd
	v_add_co_ci_u32_e32 v99, vcc_lo, s9, v117, vcc_lo
	v_fma_f64 v[32:33], v[128:129], v[32:33], v[106:107]
	s_delay_alu instid0(VALU_DEP_3) | instskip(SKIP_1) | instid1(VALU_DEP_3)
	v_add_co_u32 v100, vcc_lo, v98, s8
	s_wait_alu 0xfffd
	v_add_co_ci_u32_e32 v101, vcc_lo, s9, v99, vcc_lo
	v_fma_f64 v[34:35], v[128:129], v[34:35], -v[108:109]
	s_wait_loadcnt_dscnt 0x107
	v_mul_f64_e32 v[70:71], v[124:125], v[38:39]
	v_mul_f64_e32 v[72:73], v[124:125], v[36:37]
	s_wait_loadcnt_dscnt 0x6
	v_mul_f64_e32 v[74:75], v[132:133], v[42:43]
	v_mul_f64_e32 v[76:77], v[132:133], v[40:41]
	scratch_load_b128 v[132:135], off, off offset:188 th:TH_LOAD_LU ; 16-byte Folded Reload
	v_fma_f64 v[36:37], v[122:123], v[36:37], v[70:71]
	v_add_co_u32 v70, vcc_lo, v100, s8
	s_wait_alu 0xfffd
	v_add_co_ci_u32_e32 v71, vcc_lo, s9, v101, vcc_lo
	v_fma_f64 v[38:39], v[122:123], v[38:39], -v[72:73]
	v_fma_f64 v[40:41], v[130:131], v[40:41], v[74:75]
	v_fma_f64 v[42:43], v[130:131], v[42:43], -v[76:77]
	s_wait_loadcnt_dscnt 0x5
	v_mul_f64_e32 v[78:79], v[134:135], v[46:47]
	v_mul_f64_e32 v[80:81], v[134:135], v[44:45]
	scratch_load_b128 v[134:137], off, off offset:204 th:TH_LOAD_LU ; 16-byte Folded Reload
	s_wait_loadcnt_dscnt 0x4
	v_mul_f64_e32 v[82:83], v[136:137], v[50:51]
	v_mul_f64_e32 v[84:85], v[136:137], v[48:49]
	scratch_load_b128 v[136:139], off, off offset:220 th:TH_LOAD_LU ; 16-byte Folded Reload
	;; [unrolled: 4-line block ×5, first 2 shown]
	s_clause 0x4
	global_store_b128 v[94:95], v[0:3], off
	global_store_b128 v[112:113], v[4:7], off
	;; [unrolled: 1-line block ×6, first 2 shown]
	v_fma_f64 v[20:21], v[132:133], v[44:45], v[78:79]
	v_fma_f64 v[22:23], v[132:133], v[46:47], -v[80:81]
	v_fma_f64 v[44:45], v[134:135], v[48:49], v[82:83]
	v_fma_f64 v[46:47], v[134:135], v[50:51], -v[84:85]
	;; [unrolled: 2-line block ×4, first 2 shown]
	v_mul_f64_e32 v[0:1], s[0:1], v[24:25]
	v_mul_f64_e32 v[2:3], s[0:1], v[26:27]
	;; [unrolled: 1-line block ×10, first 2 shown]
	v_fma_f64 v[56:57], v[140:141], v[60:61], v[96:97]
	v_fma_f64 v[58:59], v[140:141], v[62:63], -v[68:69]
	v_mul_f64_e32 v[20:21], s[0:1], v[20:21]
	v_mul_f64_e32 v[22:23], s[0:1], v[22:23]
	;; [unrolled: 1-line block ×10, first 2 shown]
	s_wait_loadcnt_dscnt 0x0
	v_mul_f64_e32 v[110:111], v[144:145], v[66:67]
	v_mul_f64_e32 v[114:115], v[144:145], v[64:65]
	s_delay_alu instid0(VALU_DEP_2) | instskip(NEXT) | instid1(VALU_DEP_2)
	v_fma_f64 v[60:61], v[142:143], v[64:65], v[110:111]
	v_fma_f64 v[62:63], v[142:143], v[66:67], -v[114:115]
	v_add_co_u32 v64, vcc_lo, v70, s8
	s_wait_alu 0xfffd
	v_add_co_ci_u32_e32 v65, vcc_lo, s9, v71, vcc_lo
	s_delay_alu instid0(VALU_DEP_2) | instskip(SKIP_1) | instid1(VALU_DEP_2)
	v_add_co_u32 v66, vcc_lo, v64, s8
	s_wait_alu 0xfffd
	v_add_co_ci_u32_e32 v67, vcc_lo, s9, v65, vcc_lo
	global_store_b128 v[64:65], v[0:3], off
	v_add_co_u32 v68, vcc_lo, v66, s8
	s_wait_alu 0xfffd
	v_add_co_ci_u32_e32 v69, vcc_lo, s9, v67, vcc_lo
	global_store_b128 v[66:67], v[4:7], off
	;; [unrolled: 4-line block ×6, first 2 shown]
	v_add_co_u32 v4, vcc_lo, v2, s8
	s_wait_alu 0xfffd
	v_add_co_ci_u32_e32 v5, vcc_lo, s9, v3, vcc_lo
	v_mul_f64_e32 v[40:41], s[0:1], v[60:61]
	v_mul_f64_e32 v[42:43], s[0:1], v[62:63]
	v_add_co_u32 v6, vcc_lo, v4, s8
	s_wait_alu 0xfffd
	v_add_co_ci_u32_e32 v7, vcc_lo, s9, v5, vcc_lo
	s_delay_alu instid0(VALU_DEP_2) | instskip(SKIP_1) | instid1(VALU_DEP_2)
	v_add_co_u32 v8, vcc_lo, v6, s8
	s_wait_alu 0xfffd
	v_add_co_ci_u32_e32 v9, vcc_lo, s9, v7, vcc_lo
	s_delay_alu instid0(VALU_DEP_2) | instskip(SKIP_1) | instid1(VALU_DEP_2)
	v_add_co_u32 v0, vcc_lo, v8, s8
	s_wait_alu 0xfffd
	v_add_co_ci_u32_e32 v1, vcc_lo, s9, v9, vcc_lo
	global_store_b128 v[2:3], v[24:27], off
	global_store_b128 v[4:5], v[28:31], off
	;; [unrolled: 1-line block ×5, first 2 shown]
.LBB0_10:
	s_nop 0
	s_sendmsg sendmsg(MSG_DEALLOC_VGPRS)
	s_endpgm
	.section	.rodata,"a",@progbits
	.p2align	6, 0x0
	.amdhsa_kernel bluestein_single_fwd_len1734_dim1_dp_op_CI_CI
		.amdhsa_group_segment_fixed_size 27744
		.amdhsa_private_segment_fixed_size 508
		.amdhsa_kernarg_size 104
		.amdhsa_user_sgpr_count 2
		.amdhsa_user_sgpr_dispatch_ptr 0
		.amdhsa_user_sgpr_queue_ptr 0
		.amdhsa_user_sgpr_kernarg_segment_ptr 1
		.amdhsa_user_sgpr_dispatch_id 0
		.amdhsa_user_sgpr_private_segment_size 0
		.amdhsa_wavefront_size32 1
		.amdhsa_uses_dynamic_stack 0
		.amdhsa_enable_private_segment 1
		.amdhsa_system_sgpr_workgroup_id_x 1
		.amdhsa_system_sgpr_workgroup_id_y 0
		.amdhsa_system_sgpr_workgroup_id_z 0
		.amdhsa_system_sgpr_workgroup_info 0
		.amdhsa_system_vgpr_workitem_id 0
		.amdhsa_next_free_vgpr 256
		.amdhsa_next_free_sgpr 60
		.amdhsa_reserve_vcc 1
		.amdhsa_float_round_mode_32 0
		.amdhsa_float_round_mode_16_64 0
		.amdhsa_float_denorm_mode_32 3
		.amdhsa_float_denorm_mode_16_64 3
		.amdhsa_fp16_overflow 0
		.amdhsa_workgroup_processor_mode 1
		.amdhsa_memory_ordered 1
		.amdhsa_forward_progress 0
		.amdhsa_round_robin_scheduling 0
		.amdhsa_exception_fp_ieee_invalid_op 0
		.amdhsa_exception_fp_denorm_src 0
		.amdhsa_exception_fp_ieee_div_zero 0
		.amdhsa_exception_fp_ieee_overflow 0
		.amdhsa_exception_fp_ieee_underflow 0
		.amdhsa_exception_fp_ieee_inexact 0
		.amdhsa_exception_int_div_zero 0
	.end_amdhsa_kernel
	.text
.Lfunc_end0:
	.size	bluestein_single_fwd_len1734_dim1_dp_op_CI_CI, .Lfunc_end0-bluestein_single_fwd_len1734_dim1_dp_op_CI_CI
                                        ; -- End function
	.section	.AMDGPU.csdata,"",@progbits
; Kernel info:
; codeLenInByte = 30400
; NumSgprs: 62
; NumVgprs: 256
; ScratchSize: 508
; MemoryBound: 0
; FloatMode: 240
; IeeeMode: 1
; LDSByteSize: 27744 bytes/workgroup (compile time only)
; SGPRBlocks: 7
; VGPRBlocks: 31
; NumSGPRsForWavesPerEU: 62
; NumVGPRsForWavesPerEU: 256
; Occupancy: 4
; WaveLimiterHint : 1
; COMPUTE_PGM_RSRC2:SCRATCH_EN: 1
; COMPUTE_PGM_RSRC2:USER_SGPR: 2
; COMPUTE_PGM_RSRC2:TRAP_HANDLER: 0
; COMPUTE_PGM_RSRC2:TGID_X_EN: 1
; COMPUTE_PGM_RSRC2:TGID_Y_EN: 0
; COMPUTE_PGM_RSRC2:TGID_Z_EN: 0
; COMPUTE_PGM_RSRC2:TIDIG_COMP_CNT: 0
	.text
	.p2alignl 7, 3214868480
	.fill 96, 4, 3214868480
	.type	__hip_cuid_1e3cbd3c2d68ff7b,@object ; @__hip_cuid_1e3cbd3c2d68ff7b
	.section	.bss,"aw",@nobits
	.globl	__hip_cuid_1e3cbd3c2d68ff7b
__hip_cuid_1e3cbd3c2d68ff7b:
	.byte	0                               ; 0x0
	.size	__hip_cuid_1e3cbd3c2d68ff7b, 1

	.ident	"AMD clang version 19.0.0git (https://github.com/RadeonOpenCompute/llvm-project roc-6.4.0 25133 c7fe45cf4b819c5991fe208aaa96edf142730f1d)"
	.section	".note.GNU-stack","",@progbits
	.addrsig
	.addrsig_sym __hip_cuid_1e3cbd3c2d68ff7b
	.amdgpu_metadata
---
amdhsa.kernels:
  - .args:
      - .actual_access:  read_only
        .address_space:  global
        .offset:         0
        .size:           8
        .value_kind:     global_buffer
      - .actual_access:  read_only
        .address_space:  global
        .offset:         8
        .size:           8
        .value_kind:     global_buffer
      - .actual_access:  read_only
        .address_space:  global
        .offset:         16
        .size:           8
        .value_kind:     global_buffer
      - .actual_access:  read_only
        .address_space:  global
        .offset:         24
        .size:           8
        .value_kind:     global_buffer
      - .actual_access:  read_only
        .address_space:  global
        .offset:         32
        .size:           8
        .value_kind:     global_buffer
      - .offset:         40
        .size:           8
        .value_kind:     by_value
      - .address_space:  global
        .offset:         48
        .size:           8
        .value_kind:     global_buffer
      - .address_space:  global
        .offset:         56
        .size:           8
        .value_kind:     global_buffer
      - .address_space:  global
        .offset:         64
        .size:           8
        .value_kind:     global_buffer
      - .address_space:  global
        .offset:         72
        .size:           8
        .value_kind:     global_buffer
      - .offset:         80
        .size:           4
        .value_kind:     by_value
      - .address_space:  global
        .offset:         88
        .size:           8
        .value_kind:     global_buffer
      - .address_space:  global
        .offset:         96
        .size:           8
        .value_kind:     global_buffer
    .group_segment_fixed_size: 27744
    .kernarg_segment_align: 8
    .kernarg_segment_size: 104
    .language:       OpenCL C
    .language_version:
      - 2
      - 0
    .max_flat_workgroup_size: 102
    .name:           bluestein_single_fwd_len1734_dim1_dp_op_CI_CI
    .private_segment_fixed_size: 508
    .sgpr_count:     62
    .sgpr_spill_count: 0
    .symbol:         bluestein_single_fwd_len1734_dim1_dp_op_CI_CI.kd
    .uniform_work_group_size: 1
    .uses_dynamic_stack: false
    .vgpr_count:     256
    .vgpr_spill_count: 126
    .wavefront_size: 32
    .workgroup_processor_mode: 1
amdhsa.target:   amdgcn-amd-amdhsa--gfx1201
amdhsa.version:
  - 1
  - 2
...

	.end_amdgpu_metadata
